;; amdgpu-corpus repo=ANL-CESAR/RSBench kind=compiled arch=gfx906 opt=O3
	.amdgcn_target "amdgcn-amd-amdhsa--gfx906"
	.amdhsa_code_object_version 6
	.text
	.protected	_Z25xs_lookup_kernel_baseline5Input14SimulationData ; -- Begin function _Z25xs_lookup_kernel_baseline5Input14SimulationData
	.globl	_Z25xs_lookup_kernel_baseline5Input14SimulationData
	.p2align	8
	.type	_Z25xs_lookup_kernel_baseline5Input14SimulationData,@function
_Z25xs_lookup_kernel_baseline5Input14SimulationData: ; @_Z25xs_lookup_kernel_baseline5Input14SimulationData
; %bb.0:
	s_add_u32 s0, s0, s7
	s_load_dword s7, s[4:5], 0xfc
	s_load_dword s8, s[4:5], 0x8
	s_addc_u32 s1, s1, 0
	s_waitcnt lgkmcnt(0)
	s_and_b32 s7, s7, 0xffff
	s_mul_i32 s6, s6, s7
	v_add_u32_e32 v10, s6, v0
	v_cmp_gt_i32_e32 vcc, s8, v10
	s_and_saveexec_b64 s[6:7], vcc
	s_cbranch_execz .LBB0_124
; %bb.1:
	s_load_dwordx2 s[6:7], s[4:5], 0x18
                                        ; implicit-def: $vgpr63 : SGPR spill to VGPR lane
	v_cmp_ne_u32_e32 vcc, 0, v10
	v_mov_b32_e32 v0, 0x4a2bcaa7
	v_mov_b32_e32 v3, 0x45df23cb
	s_waitcnt lgkmcnt(0)
	v_writelane_b32 v63, s6, 0
	v_writelane_b32 v63, s7, 1
	s_load_dwordx2 s[18:19], s[4:5], 0x40
	s_load_dwordx2 s[20:21], s[4:5], 0x50
	;; [unrolled: 1-line block ×7, first 2 shown]
	s_load_dwordx4 s[12:15], s[4:5], 0xb0
	s_load_dwordx2 s[46:47], s[4:5], 0xe0
	s_waitcnt lgkmcnt(0)
	v_writelane_b32 v63, s8, 2
	v_writelane_b32 v63, s9, 3
	s_and_saveexec_b64 s[4:5], vcc
	s_cbranch_execz .LBB0_7
; %bb.2:
	v_lshlrev_b32_e32 v2, 1, v10
	v_ashrrev_i32_e32 v0, 31, v2
	v_and_b32_e32 v3, 0x7fffffff, v0
	v_mov_b32_e32 v0, 1
	v_mov_b32_e32 v4, 0
	;; [unrolled: 1-line block ×3, first 2 shown]
	s_mov_b64 s[8:9], 0
	s_mov_b32 s26, 0x26f19d38
	s_mov_b32 s15, 0xe48e2825
	v_mov_b32_e32 v5, 0
	s_mov_b64 s[10:11], 1
	s_branch .LBB0_4
.LBB0_3:                                ;   in Loop: Header=BB0_4 Depth=1
	s_or_b64 exec, exec, s[16:17]
	s_add_u32 s16, s15, 1
	s_addc_u32 s17, s26, 0
	s_mul_i32 s11, s16, s11
	s_mul_hi_u32 s27, s16, s10
	s_add_i32 s11, s27, s11
	s_mul_i32 s17, s17, s10
	s_add_i32 s11, s11, s17
	s_mul_i32 s10, s16, s10
	s_mul_i32 s16, s15, s26
	s_mul_hi_u32 s17, s15, s15
	s_add_i32 s17, s17, s16
	v_cmp_gt_u64_e32 vcc, 2, v[2:3]
	s_add_i32 s26, s17, s16
	v_lshrrev_b64 v[2:3], 1, v[2:3]
	s_mul_i32 s15, s15, s15
	s_or_b64 s[8:9], vcc, s[8:9]
	s_andn2_b64 exec, exec, s[8:9]
	s_cbranch_execz .LBB0_6
.LBB0_4:                                ; =>This Inner Loop Header: Depth=1
	v_and_b32_e32 v6, 1, v2
	v_cmp_eq_u32_e32 vcc, 1, v6
	s_and_saveexec_b64 s[16:17], vcc
	s_cbranch_execz .LBB0_3
; %bb.5:                                ;   in Loop: Header=BB0_4 Depth=1
	v_mov_b32_e32 v6, s10
	v_mov_b32_e32 v7, s11
	v_mad_u64_u32 v[6:7], s[30:31], s15, v4, v[6:7]
	v_mul_lo_u32 v5, s15, v5
	v_mul_lo_u32 v4, s26, v4
	;; [unrolled: 1-line block ×4, first 2 shown]
	v_mad_u64_u32 v[0:1], s[30:31], s15, v0, 0
	v_add3_u32 v7, v4, v7, v5
	v_mov_b32_e32 v4, v6
	v_add3_u32 v1, v1, v9, v8
	v_mov_b32_e32 v5, v7
	s_branch .LBB0_3
.LBB0_6:
	s_or_b64 exec, exec, s[8:9]
	s_movk_i32 s10, 0x42e
	v_mad_u64_u32 v[2:3], s[8:9], v0, s10, v[4:5]
	v_mov_b32_e32 v0, v3
	v_mad_u64_u32 v[0:1], s[8:9], v1, s10, v[0:1]
	s_mov_b32 s8, 0x26f19d38
	s_mov_b32 s9, 0xe48e2825
	v_mul_lo_u32 v3, v2, s8
	v_mul_lo_u32 v4, v0, s9
	v_mad_u64_u32 v[0:1], s[8:9], v2, s9, 1
	v_add3_u32 v1, v4, v1, v3
	v_and_b32_e32 v3, 0x7fffffff, v1
.LBB0_7:
	s_or_b64 exec, exec, s[4:5]
	s_mov_b32 s8, 0xe48e2825
	v_mad_u64_u32 v[1:2], s[4:5], v0, s8, 1
	s_mov_b32 s4, 0x26f19d38
	v_mul_lo_u32 v4, v0, s4
	v_mul_lo_u32 v5, v3, s8
	s_movk_i32 s4, 0xffc1
	v_add3_u32 v2, v5, v2, v4
	v_and_b32_e32 v2, 0x7fffffff, v2
	v_cvt_f64_u32_e32 v[4:5], v2
	v_cvt_f64_u32_e32 v[1:2], v1
	v_ldexp_f64 v[4:5], v[4:5], 32
	v_add_f64 v[1:2], v[4:5], v[1:2]
	v_mov_b32_e32 v4, 1
	v_ldexp_f64 v[1:2], v[1:2], s4
	s_mov_b32 s4, 0x76c8b439
	s_mov_b32 s5, 0x3faa9fbe
	v_cmp_ngt_f64_e32 vcc, s[4:5], v[1:2]
	s_and_saveexec_b64 s[4:5], vcc
	s_cbranch_execz .LBB0_29
; %bb.8:
	s_mov_b32 s8, 0x6872b021
	s_mov_b32 s9, 0x3fd4ed91
	v_cmp_ngt_f64_e32 vcc, s[8:9], v[1:2]
	v_mov_b32_e32 v4, 2
	s_and_saveexec_b64 s[8:9], vcc
	s_cbranch_execz .LBB0_28
; %bb.9:
	s_mov_b32 s10, 0x24dd2f1b
	s_mov_b32 s11, 0x3fdd8106
	v_cmp_ngt_f64_e32 vcc, s[10:11], v[1:2]
	v_mov_b32_e32 v4, 3
	;; [unrolled: 7-line block ×10, first 2 shown]
	s_and_saveexec_b64 s[42:43], vcc
; %bb.18:
	v_mov_b32_e32 v4, 0
; %bb.19:
	s_or_b64 exec, exec, s[42:43]
.LBB0_20:
	s_or_b64 exec, exec, s[40:41]
.LBB0_21:
	s_or_b64 exec, exec, s[38:39]
.LBB0_22:
	s_or_b64 exec, exec, s[36:37]
.LBB0_23:
	s_or_b64 exec, exec, s[34:35]
.LBB0_24:
	s_or_b64 exec, exec, s[30:31]
.LBB0_25:
	s_or_b64 exec, exec, s[26:27]
.LBB0_26:
	s_or_b64 exec, exec, s[16:17]
.LBB0_27:
	s_or_b64 exec, exec, s[10:11]
.LBB0_28:
	s_or_b64 exec, exec, s[8:9]
.LBB0_29:
	s_or_b64 exec, exec, s[4:5]
	v_lshlrev_b32_e32 v1, 2, v4
	global_load_dword v39, v1, s[6:7]
	v_mov_b32_e32 v8, 0
	v_mov_b32_e32 v52, 0
	;; [unrolled: 1-line block ×4, first 2 shown]
	s_mov_b32 s15, 0
	v_mov_b32_e32 v9, 0
	v_mov_b32_e32 v53, 0
	;; [unrolled: 1-line block ×4, first 2 shown]
	s_waitcnt vmcnt(0)
	v_cmp_lt_i32_e32 vcc, 0, v39
	s_mov_b64 s[4:5], exec
	v_writelane_b32 v63, s4, 4
	v_writelane_b32 v63, s5, 5
	s_and_b64 s[4:5], s[4:5], vcc
	s_mov_b64 exec, s[4:5]
	s_cbranch_execz .LBB0_123
; %bb.30:
	v_cvt_f64_u32_e32 v[1:2], v3
	v_cvt_f64_u32_e32 v[5:6], v0
	s_movk_i32 s4, 0xffc1
	s_mov_b32 s34, 0
	v_ldexp_f64 v[1:2], v[1:2], 32
	s_brev_b32 s35, 8
	v_mov_b32_e32 v40, 0x100
	buffer_store_dword v10, off, s[0:3], 0 offset:232 ; 4-byte Folded Spill
	s_nop 0
	buffer_store_dword v11, off, s[0:3], 0 offset:236 ; 4-byte Folded Spill
	v_mov_b32_e32 v42, 0xffffff80
	v_mov_b32_e32 v43, 0x260
	v_writelane_b32 v63, s46, 6
	v_writelane_b32 v63, s47, 7
	v_add_f64 v[0:1], v[1:2], v[5:6]
	v_mul_lo_u32 v2, v4, s12
	v_readlane_b32 s6, v63, 0
	v_readlane_b32 s7, v63, 1
	s_cmp_lg_u32 s7, 1
	buffer_store_dword v2, off, s[0:3], 0 offset:196 ; 4-byte Folded Spill
	v_mov_b32_e32 v8, 0
	s_mov_b32 s86, 0x54442d18
	v_ldexp_f64 v[61:62], v[0:1], s4
	v_readlane_b32 s4, v63, 2
	v_readlane_b32 s5, v63, 3
	v_mov_b32_e32 v51, s5
	s_cselect_b64 s[4:5], -1, 0
	s_mov_b32 s38, 0x33145c07
	s_mov_b32 s40, 0x6dc9c883
	;; [unrolled: 1-line block ×3, first 2 shown]
	v_cmp_gt_f64_e32 vcc, s[34:35], v[61:62]
	v_mul_f64 v[29:30], v[61:62], v[61:62]
	s_mov_b32 s44, 0x252049c0
	s_mov_b32 s46, 0x9037ab78
	;; [unrolled: 1-line block ×6, first 2 shown]
	v_cndmask_b32_e32 v0, 0, v40, vcc
	v_ldexp_f64 v[0:1], v[61:62], v0
	s_mov_b32 s94, 0x55555555
	s_mov_b32 s58, 0xb42fdfa7
	;; [unrolled: 1-line block ×7, first 2 shown]
	v_rsq_f64_e32 v[2:3], v[0:1]
	s_mov_b32 s68, 0xafdb7b46
	s_mov_b32 s70, 0x7cdfff0d
	;; [unrolled: 1-line block ×5, first 2 shown]
	v_mov_b32_e32 v52, 0
	v_mov_b32_e32 v57, 0
	;; [unrolled: 1-line block ×3, first 2 shown]
	v_writelane_b32 v63, s4, 8
	s_mov_b32 s80, 0
	s_mov_b32 s82, 0
	;; [unrolled: 1-line block ×6, first 2 shown]
	v_mul_f64 v[4:5], v[0:1], v[2:3]
	v_mul_f64 v[2:3], v[2:3], 0.5
	v_mov_b32_e32 v9, 0
	v_mov_b32_e32 v55, 0
	s_mov_b32 s87, 0x3ff921fb
	s_mov_b32 s39, 0x3c91a626
	;; [unrolled: 1-line block ×5, first 2 shown]
	v_fma_f64 v[6:7], -v[2:3], v[4:5], 0.5
	s_mov_b32 s47, 0x3e21eeb6
	s_mov_b32 s49, 0xbda907db
	;; [unrolled: 1-line block ×7, first 2 shown]
	v_fma_f64 v[4:5], v[4:5], v[6:7], v[4:5]
	v_fma_f64 v[2:3], v[2:3], v[6:7], v[2:3]
	s_mov_b32 s61, 0x3de5e0b2
	s_mov_b32 s63, 0x3ec71de3
	;; [unrolled: 1-line block ×6, first 2 shown]
	v_fma_f64 v[6:7], -v[4:5], v[4:5], v[0:1]
	s_mov_b32 s71, 0x3fe065c7
	s_mov_b32 s73, 0xc005cc47
	;; [unrolled: 1-line block ×4, first 2 shown]
	v_mov_b32_e32 v54, 0x40100000
	v_mov_b32_e32 v41, 0x7ff80000
	;; [unrolled: 1-line block ×3, first 2 shown]
	v_fma_f64 v[4:5], v[6:7], v[2:3], v[4:5]
	v_mov_b32_e32 v53, 0
	v_mov_b32_e32 v58, 0
	;; [unrolled: 1-line block ×3, first 2 shown]
	s_movk_i32 s12, 0xff80
	s_brev_b32 s33, -2
	s_movk_i32 s16, 0x1f8
	s_movk_i32 s17, 0x48
	v_fma_f64 v[6:7], -v[4:5], v[4:5], v[0:1]
	v_writelane_b32 v63, s5, 9
	s_mov_b64 s[78:79], 0
	s_mov_b32 s81, 0x41d00000
	s_mov_b32 s83, 0x7b000000
	s_mov_b32 s85, 0x7ff00000
	s_mov_b32 s37, 0xbff921fb
	s_brev_b32 s89, 1
	v_fma_f64 v[2:3], v[6:7], v[2:3], v[4:5]
	v_cndmask_b32_e32 v4, 0, v42, vcc
	v_cmp_class_f64_e32 vcc, v[0:1], v43
	s_mov_b32 s91, 0x40280000
	s_mov_b32 s93, 0x40620000
	;; [unrolled: 1-line block ×3, first 2 shown]
	v_ldexp_f64 v[2:3], v[2:3], v4
	v_cndmask_b32_e32 v32, v3, v1, vcc
	v_cndmask_b32_e32 v31, v2, v0, vcc
	v_mov_b32_e32 v0, 0x9037ab78
	v_mov_b32_e32 v1, 0x3e21eeb6
	buffer_store_dword v0, off, s[0:3], 0 offset:116 ; 4-byte Folded Spill
	s_nop 0
	buffer_store_dword v1, off, s[0:3], 0 offset:120 ; 4-byte Folded Spill
	v_mov_b32_e32 v0, 0xb42fdfa7
	v_mov_b32_e32 v1, 0xbe5ae600
	buffer_store_dword v0, off, s[0:3], 0 offset:124 ; 4-byte Folded Spill
	s_nop 0
	buffer_store_dword v1, off, s[0:3], 0 offset:128 ; 4-byte Folded Spill
	;; [unrolled: 5-line block ×4, first 2 shown]
	buffer_store_dword v31, off, s[0:3], 0 offset:64 ; 4-byte Folded Spill
	s_nop 0
	buffer_store_dword v32, off, s[0:3], 0 offset:68 ; 4-byte Folded Spill
	buffer_store_dword v29, off, s[0:3], 0 offset:108 ; 4-byte Folded Spill
	s_nop 0
	buffer_store_dword v30, off, s[0:3], 0 offset:112 ; 4-byte Folded Spill
	buffer_store_dword v39, off, s[0:3], 0 offset:224 ; 4-byte Folded Spill
	;; [unrolled: 1-line block ×3, first 2 shown]
	s_nop 0
	buffer_store_dword v62, off, s[0:3], 0 offset:160 ; 4-byte Folded Spill
	buffer_store_dword v51, off, s[0:3], 0 offset:228 ; 4-byte Folded Spill
	s_branch .LBB0_34
.LBB0_31:                               ;   in Loop: Header=BB0_34 Depth=1
	s_or_b64 exec, exec, s[96:97]
	buffer_load_dword v39, off, s[0:3], 0 offset:224 ; 4-byte Folded Reload
	buffer_load_dword v51, off, s[0:3], 0 offset:228 ; 4-byte Folded Reload
	;; [unrolled: 1-line block ×8, first 2 shown]
.LBB0_32:                               ;   in Loop: Header=BB0_34 Depth=1
	s_or_b64 exec, exec, s[8:9]
	v_add_f64 v[2:3], v[47:48], -v[49:50]
.LBB0_33:                               ;   in Loop: Header=BB0_34 Depth=1
	buffer_load_dword v4, off, s[0:3], 0 offset:188 ; 4-byte Folded Reload
	buffer_load_dword v5, off, s[0:3], 0 offset:192 ; 4-byte Folded Reload
	v_mov_b32_e32 v6, s29
	s_add_i32 s15, s15, 1
	s_waitcnt vmcnt(0)
	v_lshlrev_b64 v[4:5], 3, v[4:5]
	v_add_co_u32_e32 v4, vcc, s28, v4
	v_addc_co_u32_e32 v5, vcc, v6, v5, vcc
	global_load_dwordx2 v[4:5], v[4:5], off
	s_nop 0
	buffer_load_dword v8, off, s[0:3], 0 offset:180 ; 4-byte Folded Reload
	buffer_load_dword v9, off, s[0:3], 0 offset:184 ; 4-byte Folded Reload
	v_cmp_eq_u32_e32 vcc, s15, v39
	s_or_b64 s[78:79], vcc, s[78:79]
	s_waitcnt vmcnt(2)
	v_fma_f64 v[59:60], v[47:48], v[4:5], v[59:60]
	v_fma_f64 v[57:58], v[49:50], v[4:5], v[57:58]
	;; [unrolled: 1-line block ×3, first 2 shown]
	s_waitcnt vmcnt(0)
	v_fma_f64 v[8:9], v[2:3], v[4:5], v[8:9]
	s_andn2_b64 exec, exec, s[78:79]
	s_cbranch_execz .LBB0_122
.LBB0_34:                               ; =>This Loop Header: Depth=1
                                        ;     Child Loop BB0_69 Depth 2
                                        ;     Child Loop BB0_108 Depth 2
                                        ;       Child Loop BB0_120 Depth 3
	buffer_store_dword v8, off, s[0:3], 0 offset:180 ; 4-byte Folded Spill
	s_nop 0
	buffer_store_dword v9, off, s[0:3], 0 offset:184 ; 4-byte Folded Spill
	buffer_load_dword v0, off, s[0:3], 0 offset:196 ; 4-byte Folded Reload
	v_readlane_b32 s4, v63, 2
	v_mov_b32_e32 v2, s19
	v_readlane_b32 s5, v63, 3
	v_readlane_b32 s6, v63, 0
	;; [unrolled: 1-line block ×5, first 2 shown]
                                        ; implicit-def: $vgpr47_vgpr48
                                        ; implicit-def: $vgpr49_vgpr50
	s_waitcnt vmcnt(0)
	v_add_u32_e32 v0, s15, v0
	v_ashrrev_i32_e32 v1, 31, v0
	buffer_store_dword v0, off, s[0:3], 0 offset:188 ; 4-byte Folded Spill
	s_nop 0
	buffer_store_dword v1, off, s[0:3], 0 offset:192 ; 4-byte Folded Spill
	v_lshlrev_b64 v[0:1], 2, v[0:1]
	v_add_co_u32_e32 v0, vcc, s4, v0
	v_addc_co_u32_e32 v1, vcc, v51, v1, vcc
	global_load_dword v44, v[0:1], off
	s_waitcnt vmcnt(0)
	v_ashrrev_i32_e32 v45, 31, v44
	v_lshlrev_b64 v[0:1], 2, v[44:45]
	v_add_co_u32_e32 v0, vcc, s18, v0
	v_addc_co_u32_e32 v1, vcc, v2, v1, vcc
	global_load_dword v10, v[0:1], off
	s_waitcnt vmcnt(0)
	v_cvt_f64_i32_e32 v[0:1], v10
	v_div_scale_f64 v[2:3], s[4:5], v[0:1], v[0:1], 1.0
	v_rcp_f64_e32 v[4:5], v[2:3]
	v_fma_f64 v[6:7], -v[2:3], v[4:5], 1.0
	v_fma_f64 v[4:5], v[4:5], v[6:7], v[4:5]
	v_fma_f64 v[6:7], -v[2:3], v[4:5], 1.0
	v_fma_f64 v[4:5], v[4:5], v[6:7], v[4:5]
	v_div_scale_f64 v[6:7], vcc, 1.0, v[0:1], 1.0
	v_mul_f64 v[8:9], v[6:7], v[4:5]
	v_fma_f64 v[2:3], -v[2:3], v[8:9], v[6:7]
	s_nop 1
	v_div_fmas_f64 v[2:3], v[2:3], v[4:5], v[8:9]
	v_div_fixup_f64 v[0:1], v[2:3], v[0:1], 1.0
	v_div_scale_f64 v[2:3], s[4:5], v[0:1], v[0:1], v[61:62]
	v_rcp_f64_e32 v[4:5], v[2:3]
	v_fma_f64 v[6:7], -v[2:3], v[4:5], 1.0
	v_fma_f64 v[4:5], v[4:5], v[6:7], v[4:5]
	v_fma_f64 v[6:7], -v[2:3], v[4:5], 1.0
	v_fma_f64 v[4:5], v[4:5], v[6:7], v[4:5]
	v_div_scale_f64 v[6:7], vcc, v[61:62], v[0:1], v[61:62]
	v_mul_f64 v[8:9], v[6:7], v[4:5]
	v_fma_f64 v[2:3], -v[2:3], v[8:9], v[6:7]
	s_nop 1
	v_div_fmas_f64 v[2:3], v[2:3], v[4:5], v[8:9]
	v_div_fixup_f64 v[0:1], v[2:3], v[0:1], v[61:62]
                                        ; implicit-def: $vgpr2_vgpr3
	v_cvt_i32_f64_e32 v17, v[0:1]
	v_mul_lo_u32 v0, v44, s6
	s_mov_b64 s[6:7], -1
	v_cmp_eq_u32_e64 s[4:5], v10, v17
	v_ashrrev_i32_e32 v1, 31, v0
	v_lshlrev_b64 v[0:1], 3, v[0:1]
	v_add_co_u32_e32 v45, vcc, s24, v0
	v_mov_b32_e32 v0, s25
	v_addc_co_u32_e32 v46, vcc, v0, v1, vcc
	s_and_b64 vcc, exec, s[8:9]
                                        ; implicit-def: $vgpr0_vgpr1
	s_cbranch_vccz .LBB0_72
; %bb.35:                               ;   in Loop: Header=BB0_34 Depth=1
	global_load_dwordx2 v[0:1], v[45:46], off
                                        ; implicit-def: $vgpr20
                                        ; implicit-def: $vgpr10_vgpr11
                                        ; implicit-def: $vgpr12_vgpr13
	s_waitcnt vmcnt(0)
	v_mul_f64 v[0:1], v[31:32], v[0:1]
	v_add_f64 v[0:1], v[0:1], v[0:1]
	v_trig_preop_f64 v[6:7], |v[0:1]|, 0
	v_trig_preop_f64 v[4:5], |v[0:1]|, 1
	;; [unrolled: 1-line block ×3, first 2 shown]
	v_cmp_nlt_f64_e64 s[8:9], |v[0:1]|, s[80:81]
	v_ldexp_f64 v[8:9], |v[0:1]|, s12
	v_and_b32_e32 v16, 0x7fffffff, v1
	s_and_saveexec_b64 s[6:7], s[8:9]
	s_xor_b64 s[10:11], exec, s[6:7]
	s_cbranch_execz .LBB0_37
; %bb.36:                               ;   in Loop: Header=BB0_34 Depth=1
	v_cmp_ge_f64_e64 vcc, |v[0:1]|, s[82:83]
	v_cndmask_b32_e32 v15, v16, v9, vcc
	v_cndmask_b32_e32 v14, v0, v8, vcc
	v_mul_f64 v[20:21], v[6:7], v[14:15]
	v_mul_f64 v[10:11], v[4:5], v[14:15]
	;; [unrolled: 1-line block ×3, first 2 shown]
	v_fma_f64 v[22:23], v[6:7], v[14:15], -v[20:21]
	v_add_f64 v[24:25], v[10:11], v[22:23]
	v_add_f64 v[28:29], v[24:25], -v[10:11]
	v_add_f64 v[26:27], v[20:21], v[24:25]
	v_add_f64 v[22:23], v[22:23], -v[28:29]
	v_add_f64 v[28:29], v[24:25], -v[28:29]
	v_ldexp_f64 v[12:13], v[26:27], -2
	v_add_f64 v[28:29], v[10:11], -v[28:29]
	v_fract_f64_e32 v[18:19], v[12:13]
	v_cmp_neq_f64_e64 vcc, |v[12:13]|, s[84:85]
	v_add_f64 v[22:23], v[22:23], v[28:29]
	v_fma_f64 v[28:29], v[4:5], v[14:15], -v[10:11]
	v_add_f64 v[10:11], v[26:27], -v[20:21]
	v_ldexp_f64 v[18:19], v[18:19], 2
	v_fma_f64 v[14:15], v[2:3], v[14:15], -v[30:31]
	v_add_f64 v[32:33], v[30:31], v[28:29]
	v_add_f64 v[20:21], v[24:25], -v[10:11]
	v_cndmask_b32_e32 v13, 0, v19, vcc
	v_cndmask_b32_e32 v12, 0, v18, vcc
	v_add_f64 v[34:35], v[32:33], v[22:23]
	v_add_f64 v[24:25], v[34:35], -v[32:33]
	v_add_f64 v[10:11], v[20:21], v[34:35]
	v_add_f64 v[22:23], v[22:23], -v[24:25]
	v_add_f64 v[24:25], v[34:35], -v[24:25]
	v_add_f64 v[18:19], v[10:11], v[12:13]
	v_add_f64 v[20:21], v[10:11], -v[20:21]
	v_add_f64 v[24:25], v[32:33], -v[24:25]
	v_cmp_gt_f64_e32 vcc, 0, v[18:19]
	v_add_f64 v[20:21], v[34:35], -v[20:21]
	v_add_f64 v[22:23], v[22:23], v[24:25]
	v_add_f64 v[24:25], v[32:33], -v[30:31]
	v_cndmask_b32_e32 v56, 0, v54, vcc
	v_add_f64 v[12:13], v[12:13], v[55:56]
	v_add_f64 v[26:27], v[28:29], -v[24:25]
	v_add_f64 v[24:25], v[32:33], -v[24:25]
	v_add_f64 v[18:19], v[10:11], v[12:13]
	v_add_f64 v[24:25], v[30:31], -v[24:25]
	buffer_load_dword v29, off, s[0:3], 0 offset:108 ; 4-byte Folded Reload
	buffer_load_dword v30, off, s[0:3], 0 offset:112 ; 4-byte Folded Reload
	;; [unrolled: 1-line block ×4, first 2 shown]
	v_add_f64 v[24:25], v[26:27], v[24:25]
	v_add_f64 v[22:23], v[24:25], v[22:23]
	v_add_f64 v[14:15], v[14:15], v[22:23]
	v_add_f64 v[14:15], v[20:21], v[14:15]
	v_cvt_i32_f64_e32 v20, v[18:19]
	v_cvt_f64_i32_e32 v[18:19], v20
	v_add_f64 v[12:13], v[12:13], -v[18:19]
	v_add_f64 v[18:19], v[10:11], v[12:13]
	v_add_f64 v[12:13], v[18:19], -v[12:13]
	v_cmp_le_f64_e32 vcc, 0.5, v[18:19]
	v_add_f64 v[10:11], v[10:11], -v[12:13]
	v_mov_b32_e32 v12, 0x3ff00000
	v_cndmask_b32_e32 v56, 0, v12, vcc
	v_add_f64 v[12:13], v[18:19], -v[55:56]
	v_addc_co_u32_e64 v20, s[6:7], 0, v20, vcc
	v_mov_b32_e32 v56, 0
	v_add_f64 v[10:11], v[14:15], v[10:11]
	v_add_f64 v[14:15], v[12:13], v[10:11]
	v_add_f64 v[12:13], v[14:15], -v[12:13]
	v_add_f64 v[10:11], v[10:11], -v[12:13]
	v_mul_f64 v[12:13], v[14:15], s[86:87]
	v_fma_f64 v[18:19], v[14:15], s[86:87], -v[12:13]
	v_fma_f64 v[14:15], v[14:15], s[38:39], v[18:19]
	v_fma_f64 v[14:15], v[10:11], s[86:87], v[14:15]
	v_add_f64 v[10:11], v[12:13], v[14:15]
	v_add_f64 v[12:13], v[10:11], -v[12:13]
	v_add_f64 v[12:13], v[14:15], -v[12:13]
.LBB0_37:                               ;   in Loop: Header=BB0_34 Depth=1
	s_andn2_saveexec_b64 s[6:7], s[10:11]
	s_cbranch_execz .LBB0_39
; %bb.38:                               ;   in Loop: Header=BB0_34 Depth=1
	v_mul_f64 v[10:11], |v[0:1]|, s[40:41]
	s_mov_b32 s36, s86
	s_mov_b32 s10, s42
	;; [unrolled: 1-line block ×3, first 2 shown]
	v_rndne_f64_e32 v[14:15], v[10:11]
	v_fma_f64 v[10:11], v[14:15], s[36:37], |v[0:1]|
	v_mul_f64 v[12:13], v[14:15], s[42:43]
	v_fma_f64 v[22:23], v[14:15], s[42:43], v[10:11]
	v_add_f64 v[18:19], v[10:11], v[12:13]
	v_add_f64 v[20:21], v[10:11], -v[18:19]
	v_add_f64 v[18:19], v[18:19], -v[22:23]
	v_add_f64 v[10:11], v[20:21], v[12:13]
	v_fma_f64 v[12:13], v[14:15], s[10:11], v[12:13]
	v_cvt_i32_f64_e32 v20, v[14:15]
	v_add_f64 v[10:11], v[18:19], v[10:11]
	v_add_f64 v[10:11], v[10:11], -v[12:13]
	v_fma_f64 v[12:13], v[14:15], s[44:45], v[10:11]
	v_add_f64 v[10:11], v[22:23], v[12:13]
	v_add_f64 v[18:19], v[10:11], -v[22:23]
	v_add_f64 v[12:13], v[12:13], -v[18:19]
.LBB0_39:                               ;   in Loop: Header=BB0_34 Depth=1
	s_or_b64 exec, exec, s[6:7]
	buffer_load_dword v25, off, s[0:3], 0 offset:116 ; 4-byte Folded Reload
	buffer_load_dword v26, off, s[0:3], 0 offset:120 ; 4-byte Folded Reload
	v_mul_f64 v[18:19], v[10:11], v[10:11]
	s_mov_b32 s56, s94
	v_mul_f64 v[14:15], v[18:19], 0.5
	v_add_f64 v[21:22], -v[14:15], 1.0
	v_add_f64 v[23:24], -v[21:22], 1.0
	v_add_f64 v[14:15], v[23:24], -v[14:15]
	v_mul_f64 v[23:24], v[18:19], v[18:19]
	v_fma_f64 v[14:15], v[10:11], -v[12:13], v[14:15]
	s_waitcnt vmcnt(0)
	v_fma_f64 v[25:26], v[18:19], s[48:49], v[25:26]
	v_fma_f64 v[25:26], v[18:19], v[25:26], s[50:51]
	;; [unrolled: 1-line block ×6, first 2 shown]
	v_mul_f64 v[23:24], v[10:11], -v[18:19]
	v_mul_f64 v[25:26], v[12:13], 0.5
	v_add_f64 v[14:15], v[21:22], v[14:15]
	buffer_load_dword v21, off, s[0:3], 0 offset:124 ; 4-byte Folded Reload
	buffer_load_dword v22, off, s[0:3], 0 offset:128 ; 4-byte Folded Reload
	s_waitcnt vmcnt(0)
	v_fma_f64 v[21:22], v[18:19], s[60:61], v[21:22]
	v_fma_f64 v[21:22], v[18:19], v[21:22], s[62:63]
	;; [unrolled: 1-line block ×5, first 2 shown]
	v_fma_f64 v[12:13], v[18:19], v[21:22], -v[12:13]
	v_fma_f64 v[12:13], v[23:24], s[56:57], v[12:13]
	v_add_f64 v[10:11], v[10:11], -v[12:13]
	v_and_b32_e32 v12, 1, v20
	v_cmp_eq_u32_e32 vcc, 0, v12
	v_lshlrev_b32_e32 v12, 30, v20
	v_and_b32_e32 v12, 0x80000000, v12
	v_xor_b32_e32 v11, 0x80000000, v11
	v_cndmask_b32_e32 v10, v10, v14, vcc
	v_cndmask_b32_e32 v11, v11, v15, vcc
	v_cmp_class_f64_e64 vcc, v[0:1], s16
	v_xor_b32_e32 v11, v11, v12
                                        ; implicit-def: $vgpr14
                                        ; implicit-def: $vgpr12_vgpr13
	v_cndmask_b32_e32 v11, v41, v11, vcc
	v_cndmask_b32_e32 v10, 0, v10, vcc
	buffer_store_dword v10, off, s[0:3], 0
	buffer_store_dword v11, off, s[0:3], 0 offset:4
                                        ; implicit-def: $vgpr10_vgpr11
	s_and_saveexec_b64 s[6:7], s[8:9]
	s_xor_b64 s[10:11], exec, s[6:7]
	s_cbranch_execz .LBB0_41
; %bb.40:                               ;   in Loop: Header=BB0_34 Depth=1
	v_cmp_ge_f64_e64 s[6:7], |v[0:1]|, s[82:83]
	v_cndmask_b32_e64 v11, v16, v9, s[6:7]
	v_cndmask_b32_e64 v10, v0, v8, s[6:7]
	v_mul_f64 v[14:15], v[6:7], v[10:11]
	v_mul_f64 v[12:13], v[4:5], v[10:11]
	v_fma_f64 v[18:19], v[6:7], v[10:11], -v[14:15]
	v_add_f64 v[20:21], v[12:13], v[18:19]
	v_add_f64 v[24:25], v[20:21], -v[12:13]
	v_add_f64 v[22:23], v[14:15], v[20:21]
	v_add_f64 v[18:19], v[18:19], -v[24:25]
	v_add_f64 v[24:25], v[20:21], -v[24:25]
	v_ldexp_f64 v[6:7], v[22:23], -2
	v_add_f64 v[24:25], v[12:13], -v[24:25]
	v_fma_f64 v[12:13], v[4:5], v[10:11], -v[12:13]
	v_add_f64 v[4:5], v[22:23], -v[14:15]
	v_fract_f64_e32 v[8:9], v[6:7]
	v_cmp_neq_f64_e64 s[6:7], |v[6:7]|, s[84:85]
	v_add_f64 v[18:19], v[18:19], v[24:25]
	v_mul_f64 v[24:25], v[2:3], v[10:11]
	v_add_f64 v[14:15], v[20:21], -v[4:5]
	v_ldexp_f64 v[8:9], v[8:9], 2
	v_add_f64 v[26:27], v[24:25], v[12:13]
	v_fma_f64 v[2:3], v[2:3], v[10:11], -v[24:25]
	v_cndmask_b32_e64 v7, 0, v9, s[6:7]
	v_cndmask_b32_e64 v6, 0, v8, s[6:7]
	v_add_f64 v[28:29], v[26:27], v[18:19]
	v_add_f64 v[4:5], v[14:15], v[28:29]
	v_add_f64 v[20:21], v[28:29], -v[26:27]
	v_add_f64 v[8:9], v[4:5], v[6:7]
	v_add_f64 v[18:19], v[18:19], -v[20:21]
	v_add_f64 v[20:21], v[28:29], -v[20:21]
	;; [unrolled: 1-line block ×3, first 2 shown]
	v_cmp_gt_f64_e64 s[6:7], 0, v[8:9]
	v_add_f64 v[20:21], v[26:27], -v[20:21]
	v_add_f64 v[14:15], v[28:29], -v[14:15]
	buffer_load_dword v29, off, s[0:3], 0 offset:108 ; 4-byte Folded Reload
	buffer_load_dword v30, off, s[0:3], 0 offset:112 ; 4-byte Folded Reload
	v_cndmask_b32_e64 v56, 0, v54, s[6:7]
	v_add_f64 v[6:7], v[6:7], v[55:56]
	v_add_f64 v[18:19], v[18:19], v[20:21]
	v_add_f64 v[20:21], v[26:27], -v[24:25]
	v_add_f64 v[8:9], v[4:5], v[6:7]
	v_add_f64 v[12:13], v[12:13], -v[20:21]
	v_add_f64 v[20:21], v[26:27], -v[20:21]
	v_cvt_i32_f64_e32 v10, v[8:9]
	v_add_f64 v[20:21], v[24:25], -v[20:21]
	v_cvt_f64_i32_e32 v[8:9], v10
	v_add_f64 v[6:7], v[6:7], -v[8:9]
	v_add_f64 v[12:13], v[12:13], v[20:21]
	v_add_f64 v[8:9], v[4:5], v[6:7]
	;; [unrolled: 1-line block ×3, first 2 shown]
	v_add_f64 v[6:7], v[8:9], -v[6:7]
	v_cmp_le_f64_e64 s[6:7], 0.5, v[8:9]
	v_add_f64 v[2:3], v[2:3], v[12:13]
	v_add_f64 v[4:5], v[4:5], -v[6:7]
	v_add_f64 v[2:3], v[14:15], v[2:3]
	v_addc_co_u32_e64 v14, s[8:9], 0, v10, s[6:7]
	v_add_f64 v[2:3], v[2:3], v[4:5]
	v_mov_b32_e32 v4, 0x3ff00000
	v_cndmask_b32_e64 v56, 0, v4, s[6:7]
	v_add_f64 v[4:5], v[8:9], -v[55:56]
	v_mov_b32_e32 v56, 0
	v_add_f64 v[6:7], v[4:5], v[2:3]
	v_add_f64 v[4:5], v[6:7], -v[4:5]
	v_add_f64 v[2:3], v[2:3], -v[4:5]
	v_mul_f64 v[4:5], v[6:7], s[86:87]
	v_fma_f64 v[8:9], v[6:7], s[86:87], -v[4:5]
	v_fma_f64 v[6:7], v[6:7], s[38:39], v[8:9]
	v_fma_f64 v[2:3], v[2:3], s[86:87], v[6:7]
	v_add_f64 v[10:11], v[4:5], v[2:3]
	v_add_f64 v[4:5], v[10:11], -v[4:5]
	v_add_f64 v[12:13], v[2:3], -v[4:5]
.LBB0_41:                               ;   in Loop: Header=BB0_34 Depth=1
	s_andn2_saveexec_b64 s[6:7], s[10:11]
	s_cbranch_execz .LBB0_43
; %bb.42:                               ;   in Loop: Header=BB0_34 Depth=1
	v_mul_f64 v[2:3], |v[0:1]|, s[40:41]
	s_mov_b32 s36, s86
	s_mov_b32 s8, s42
	;; [unrolled: 1-line block ×3, first 2 shown]
	v_rndne_f64_e32 v[2:3], v[2:3]
	v_fma_f64 v[4:5], v[2:3], s[36:37], |v[0:1]|
	v_mul_f64 v[6:7], v[2:3], s[42:43]
	v_cvt_i32_f64_e32 v14, v[2:3]
	v_add_f64 v[8:9], v[4:5], v[6:7]
	v_add_f64 v[10:11], v[4:5], -v[8:9]
	v_fma_f64 v[4:5], v[2:3], s[42:43], v[4:5]
	v_add_f64 v[10:11], v[10:11], v[6:7]
	v_add_f64 v[8:9], v[8:9], -v[4:5]
	v_fma_f64 v[6:7], v[2:3], s[8:9], v[6:7]
	v_add_f64 v[8:9], v[8:9], v[10:11]
	v_add_f64 v[6:7], v[8:9], -v[6:7]
	v_fma_f64 v[6:7], v[2:3], s[44:45], v[6:7]
	v_add_f64 v[10:11], v[4:5], v[6:7]
	v_add_f64 v[4:5], v[10:11], -v[4:5]
	v_add_f64 v[12:13], v[6:7], -v[4:5]
.LBB0_43:                               ;   in Loop: Header=BB0_34 Depth=1
	s_or_b64 exec, exec, s[6:7]
	buffer_load_dword v15, off, s[0:3], 0 offset:116 ; 4-byte Folded Reload
	buffer_load_dword v16, off, s[0:3], 0 offset:120 ; 4-byte Folded Reload
	v_mul_f64 v[2:3], v[10:11], v[10:11]
	s_mov_b32 s56, s94
	v_and_b32_e32 v0, 1, v14
	v_cmp_eq_u32_e64 s[6:7], 0, v0
                                        ; implicit-def: $vgpr20
	v_mul_f64 v[4:5], v[2:3], 0.5
	v_add_f64 v[6:7], -v[4:5], 1.0
	v_add_f64 v[8:9], -v[6:7], 1.0
	v_add_f64 v[4:5], v[8:9], -v[4:5]
	v_mul_f64 v[8:9], v[2:3], v[2:3]
	v_fma_f64 v[4:5], v[10:11], -v[12:13], v[4:5]
	s_waitcnt vmcnt(0)
	v_fma_f64 v[15:16], v[2:3], s[48:49], v[15:16]
	v_fma_f64 v[15:16], v[2:3], v[15:16], s[50:51]
	;; [unrolled: 1-line block ×6, first 2 shown]
	v_mul_f64 v[8:9], v[10:11], -v[2:3]
	v_mul_f64 v[15:16], v[12:13], 0.5
	v_add_f64 v[4:5], v[6:7], v[4:5]
	buffer_load_dword v6, off, s[0:3], 0 offset:124 ; 4-byte Folded Reload
	buffer_load_dword v7, off, s[0:3], 0 offset:128 ; 4-byte Folded Reload
	s_waitcnt vmcnt(0)
	v_fma_f64 v[6:7], v[2:3], s[60:61], v[6:7]
	v_fma_f64 v[6:7], v[2:3], v[6:7], s[62:63]
	v_fma_f64 v[6:7], v[2:3], v[6:7], s[64:65]
	v_fma_f64 v[6:7], v[2:3], v[6:7], s[66:67]
	v_fma_f64 v[6:7], v[8:9], v[6:7], v[15:16]
	v_fma_f64 v[2:3], v[2:3], v[6:7], -v[12:13]
	v_fma_f64 v[2:3], v[8:9], s[56:57], v[2:3]
	v_add_f64 v[2:3], v[10:11], -v[2:3]
	v_cndmask_b32_e64 v0, v4, v2, s[6:7]
	v_cndmask_b32_e64 v2, v5, v3, s[6:7]
	v_lshlrev_b32_e32 v3, 30, v14
	v_xor_b32_e32 v1, v3, v1
	v_and_b32_e32 v1, 0x80000000, v1
	v_xor_b32_e32 v1, v2, v1
	v_cndmask_b32_e32 v0, 0, v0, vcc
	v_mov_b32_e32 v2, 0xfff80000
	v_cndmask_b32_e64 v1, v2, -v1, vcc
	buffer_store_dword v0, off, s[0:3], 0 offset:8
	buffer_store_dword v1, off, s[0:3], 0 offset:12
	global_load_dwordx2 v[0:1], v[45:46], off offset:8
	s_waitcnt vmcnt(0)
	v_mul_f64 v[2:3], v[31:32], v[0:1]
	v_and_b32_e32 v5, 0x7fffffff, v3
	v_mov_b32_e32 v4, v2
	v_div_scale_f64 v[6:7], s[8:9], v[4:5], v[4:5], 1.0
	v_cmp_gt_f64_e64 s[6:7], |v[2:3]|, 1.0
	s_mov_b32 s8, 0xb5e68a13
	s_mov_b32 s9, 0x3eeba404
	v_rcp_f64_e32 v[8:9], v[6:7]
	v_fma_f64 v[10:11], -v[6:7], v[8:9], 1.0
	v_fma_f64 v[8:9], v[8:9], v[10:11], v[8:9]
	v_fma_f64 v[10:11], -v[6:7], v[8:9], 1.0
	v_fma_f64 v[8:9], v[8:9], v[10:11], v[8:9]
	v_div_scale_f64 v[10:11], vcc, 1.0, v[4:5], 1.0
	v_mul_f64 v[12:13], v[10:11], v[8:9]
	v_fma_f64 v[6:7], -v[6:7], v[12:13], v[10:11]
                                        ; implicit-def: $vgpr10_vgpr11
	s_nop 1
	v_div_fmas_f64 v[6:7], v[6:7], v[8:9], v[12:13]
	buffer_load_dword v8, off, s[0:3], 0 offset:164 ; 4-byte Folded Reload
	buffer_load_dword v9, off, s[0:3], 0 offset:168 ; 4-byte Folded Reload
                                        ; implicit-def: $vgpr12_vgpr13
	v_div_fixup_f64 v[6:7], v[6:7], |v[2:3]|, 1.0
	v_cndmask_b32_e64 v5, v5, v7, s[6:7]
	v_cndmask_b32_e64 v4, v2, v6, s[6:7]
	v_mul_f64 v[6:7], v[4:5], v[4:5]
	s_waitcnt vmcnt(0)
	v_fma_f64 v[8:9], v[6:7], s[8:9], v[8:9]
	s_mov_b32 s8, 0x69efb384
	s_mov_b32 s9, 0x3f4b2bb0
	v_fma_f64 v[8:9], v[6:7], v[8:9], s[8:9]
	s_mov_b32 s8, 0xaf56de9b
	s_mov_b32 s9, 0xbf67952d
	;; [unrolled: 3-line block ×18, first 2 shown]
	v_fma_f64 v[8:9], v[6:7], v[8:9], s[8:9]
	v_mul_f64 v[6:7], v[6:7], v[8:9]
	v_fma_f64 v[4:5], v[4:5], v[6:7], v[4:5]
	buffer_load_dword v6, off, s[0:3], 0 offset:172 ; 4-byte Folded Reload
	buffer_load_dword v7, off, s[0:3], 0 offset:176 ; 4-byte Folded Reload
	s_waitcnt vmcnt(0)
	v_fma_f64 v[6:7], s[26:27], v[6:7], -v[4:5]
	v_cndmask_b32_e64 v2, v4, v6, s[6:7]
	v_cndmask_b32_e64 v4, v5, v7, s[6:7]
	v_bfi_b32 v3, s33, v4, v3
	v_fma_f64 v[0:1], v[31:32], v[0:1], v[2:3]
	v_add_f64 v[0:1], v[0:1], v[0:1]
	v_trig_preop_f64 v[6:7], |v[0:1]|, 0
	v_trig_preop_f64 v[4:5], |v[0:1]|, 1
	;; [unrolled: 1-line block ×3, first 2 shown]
	v_cmp_nlt_f64_e64 s[8:9], |v[0:1]|, s[80:81]
	v_ldexp_f64 v[8:9], |v[0:1]|, s12
	v_and_b32_e32 v16, 0x7fffffff, v1
	s_and_saveexec_b64 s[6:7], s[8:9]
	s_xor_b64 s[10:11], exec, s[6:7]
	s_cbranch_execz .LBB0_45
; %bb.44:                               ;   in Loop: Header=BB0_34 Depth=1
	v_cmp_ge_f64_e64 vcc, |v[0:1]|, s[82:83]
	v_cndmask_b32_e32 v15, v16, v9, vcc
	v_cndmask_b32_e32 v14, v0, v8, vcc
	v_mul_f64 v[20:21], v[6:7], v[14:15]
	v_mul_f64 v[10:11], v[4:5], v[14:15]
	;; [unrolled: 1-line block ×3, first 2 shown]
	v_fma_f64 v[22:23], v[6:7], v[14:15], -v[20:21]
	v_add_f64 v[24:25], v[10:11], v[22:23]
	v_add_f64 v[28:29], v[24:25], -v[10:11]
	v_add_f64 v[26:27], v[20:21], v[24:25]
	v_add_f64 v[22:23], v[22:23], -v[28:29]
	v_add_f64 v[28:29], v[24:25], -v[28:29]
	v_ldexp_f64 v[12:13], v[26:27], -2
	v_add_f64 v[28:29], v[10:11], -v[28:29]
	v_fract_f64_e32 v[18:19], v[12:13]
	v_cmp_neq_f64_e64 vcc, |v[12:13]|, s[84:85]
	v_add_f64 v[22:23], v[22:23], v[28:29]
	v_fma_f64 v[28:29], v[4:5], v[14:15], -v[10:11]
	v_add_f64 v[10:11], v[26:27], -v[20:21]
	v_ldexp_f64 v[18:19], v[18:19], 2
	v_fma_f64 v[14:15], v[2:3], v[14:15], -v[30:31]
	v_add_f64 v[32:33], v[30:31], v[28:29]
	v_add_f64 v[20:21], v[24:25], -v[10:11]
	v_cndmask_b32_e32 v13, 0, v19, vcc
	v_cndmask_b32_e32 v12, 0, v18, vcc
	v_add_f64 v[34:35], v[32:33], v[22:23]
	v_add_f64 v[24:25], v[34:35], -v[32:33]
	v_add_f64 v[10:11], v[20:21], v[34:35]
	v_add_f64 v[22:23], v[22:23], -v[24:25]
	v_add_f64 v[24:25], v[34:35], -v[24:25]
	v_add_f64 v[18:19], v[10:11], v[12:13]
	v_add_f64 v[20:21], v[10:11], -v[20:21]
	v_add_f64 v[24:25], v[32:33], -v[24:25]
	v_cmp_gt_f64_e32 vcc, 0, v[18:19]
	v_add_f64 v[20:21], v[34:35], -v[20:21]
	v_add_f64 v[22:23], v[22:23], v[24:25]
	v_add_f64 v[24:25], v[32:33], -v[30:31]
	v_cndmask_b32_e32 v56, 0, v54, vcc
	v_add_f64 v[12:13], v[12:13], v[55:56]
	v_add_f64 v[26:27], v[28:29], -v[24:25]
	v_add_f64 v[24:25], v[32:33], -v[24:25]
	v_add_f64 v[18:19], v[10:11], v[12:13]
	v_add_f64 v[24:25], v[30:31], -v[24:25]
	buffer_load_dword v29, off, s[0:3], 0 offset:108 ; 4-byte Folded Reload
	buffer_load_dword v30, off, s[0:3], 0 offset:112 ; 4-byte Folded Reload
	;; [unrolled: 1-line block ×4, first 2 shown]
	v_add_f64 v[24:25], v[26:27], v[24:25]
	v_add_f64 v[22:23], v[24:25], v[22:23]
	;; [unrolled: 1-line block ×4, first 2 shown]
	v_cvt_i32_f64_e32 v20, v[18:19]
	v_cvt_f64_i32_e32 v[18:19], v20
	v_add_f64 v[12:13], v[12:13], -v[18:19]
	v_add_f64 v[18:19], v[10:11], v[12:13]
	v_add_f64 v[12:13], v[18:19], -v[12:13]
	v_cmp_le_f64_e32 vcc, 0.5, v[18:19]
	v_add_f64 v[10:11], v[10:11], -v[12:13]
	v_mov_b32_e32 v12, 0x3ff00000
	v_cndmask_b32_e32 v56, 0, v12, vcc
	v_add_f64 v[12:13], v[18:19], -v[55:56]
	v_addc_co_u32_e64 v20, s[6:7], 0, v20, vcc
	v_mov_b32_e32 v56, 0
	v_add_f64 v[10:11], v[14:15], v[10:11]
	v_add_f64 v[14:15], v[12:13], v[10:11]
	v_add_f64 v[12:13], v[14:15], -v[12:13]
	v_add_f64 v[10:11], v[10:11], -v[12:13]
	v_mul_f64 v[12:13], v[14:15], s[86:87]
	v_fma_f64 v[18:19], v[14:15], s[86:87], -v[12:13]
	v_fma_f64 v[14:15], v[14:15], s[38:39], v[18:19]
	v_fma_f64 v[14:15], v[10:11], s[86:87], v[14:15]
	v_add_f64 v[10:11], v[12:13], v[14:15]
	v_add_f64 v[12:13], v[10:11], -v[12:13]
	v_add_f64 v[12:13], v[14:15], -v[12:13]
.LBB0_45:                               ;   in Loop: Header=BB0_34 Depth=1
	s_andn2_saveexec_b64 s[6:7], s[10:11]
	s_cbranch_execz .LBB0_47
; %bb.46:                               ;   in Loop: Header=BB0_34 Depth=1
	v_mul_f64 v[10:11], |v[0:1]|, s[40:41]
	s_mov_b32 s36, s86
	s_mov_b32 s10, s42
	;; [unrolled: 1-line block ×3, first 2 shown]
	v_rndne_f64_e32 v[14:15], v[10:11]
	v_fma_f64 v[10:11], v[14:15], s[36:37], |v[0:1]|
	v_mul_f64 v[12:13], v[14:15], s[42:43]
	v_fma_f64 v[22:23], v[14:15], s[42:43], v[10:11]
	v_add_f64 v[18:19], v[10:11], v[12:13]
	v_add_f64 v[20:21], v[10:11], -v[18:19]
	v_add_f64 v[18:19], v[18:19], -v[22:23]
	v_add_f64 v[10:11], v[20:21], v[12:13]
	v_fma_f64 v[12:13], v[14:15], s[10:11], v[12:13]
	v_cvt_i32_f64_e32 v20, v[14:15]
	v_add_f64 v[10:11], v[18:19], v[10:11]
	v_add_f64 v[10:11], v[10:11], -v[12:13]
	v_fma_f64 v[12:13], v[14:15], s[44:45], v[10:11]
	v_add_f64 v[10:11], v[22:23], v[12:13]
	v_add_f64 v[18:19], v[10:11], -v[22:23]
	v_add_f64 v[12:13], v[12:13], -v[18:19]
.LBB0_47:                               ;   in Loop: Header=BB0_34 Depth=1
	s_or_b64 exec, exec, s[6:7]
	buffer_load_dword v25, off, s[0:3], 0 offset:116 ; 4-byte Folded Reload
	buffer_load_dword v26, off, s[0:3], 0 offset:120 ; 4-byte Folded Reload
	v_mul_f64 v[18:19], v[10:11], v[10:11]
	s_mov_b32 s56, s94
	v_mul_f64 v[14:15], v[18:19], 0.5
	v_add_f64 v[21:22], -v[14:15], 1.0
	v_add_f64 v[23:24], -v[21:22], 1.0
	v_add_f64 v[14:15], v[23:24], -v[14:15]
	v_mul_f64 v[23:24], v[18:19], v[18:19]
	v_fma_f64 v[14:15], v[10:11], -v[12:13], v[14:15]
	s_waitcnt vmcnt(0)
	v_fma_f64 v[25:26], v[18:19], s[48:49], v[25:26]
	v_fma_f64 v[25:26], v[18:19], v[25:26], s[50:51]
	;; [unrolled: 1-line block ×6, first 2 shown]
	v_mul_f64 v[23:24], v[10:11], -v[18:19]
	v_mul_f64 v[25:26], v[12:13], 0.5
	v_add_f64 v[14:15], v[21:22], v[14:15]
	buffer_load_dword v21, off, s[0:3], 0 offset:124 ; 4-byte Folded Reload
	buffer_load_dword v22, off, s[0:3], 0 offset:128 ; 4-byte Folded Reload
	s_waitcnt vmcnt(0)
	v_fma_f64 v[21:22], v[18:19], s[60:61], v[21:22]
	v_fma_f64 v[21:22], v[18:19], v[21:22], s[62:63]
	v_fma_f64 v[21:22], v[18:19], v[21:22], s[64:65]
	v_fma_f64 v[21:22], v[18:19], v[21:22], s[66:67]
	v_fma_f64 v[21:22], v[23:24], v[21:22], v[25:26]
	v_fma_f64 v[12:13], v[18:19], v[21:22], -v[12:13]
	v_fma_f64 v[12:13], v[23:24], s[56:57], v[12:13]
	v_add_f64 v[10:11], v[10:11], -v[12:13]
	v_and_b32_e32 v12, 1, v20
	v_cmp_eq_u32_e32 vcc, 0, v12
	v_lshlrev_b32_e32 v12, 30, v20
	v_and_b32_e32 v12, 0x80000000, v12
	v_xor_b32_e32 v11, 0x80000000, v11
	v_cndmask_b32_e32 v10, v10, v14, vcc
	v_cndmask_b32_e32 v11, v11, v15, vcc
	v_cmp_class_f64_e64 vcc, v[0:1], s16
	v_xor_b32_e32 v11, v11, v12
                                        ; implicit-def: $vgpr14
                                        ; implicit-def: $vgpr12_vgpr13
	v_cndmask_b32_e32 v11, v41, v11, vcc
	v_cndmask_b32_e32 v10, 0, v10, vcc
	buffer_store_dword v10, off, s[0:3], 0 offset:16
	buffer_store_dword v11, off, s[0:3], 0 offset:20
                                        ; implicit-def: $vgpr10_vgpr11
	s_and_saveexec_b64 s[6:7], s[8:9]
	s_xor_b64 s[10:11], exec, s[6:7]
	s_cbranch_execz .LBB0_49
; %bb.48:                               ;   in Loop: Header=BB0_34 Depth=1
	v_cmp_ge_f64_e64 s[6:7], |v[0:1]|, s[82:83]
	v_cndmask_b32_e64 v11, v16, v9, s[6:7]
	v_cndmask_b32_e64 v10, v0, v8, s[6:7]
	v_mul_f64 v[14:15], v[6:7], v[10:11]
	v_mul_f64 v[12:13], v[4:5], v[10:11]
	v_fma_f64 v[18:19], v[6:7], v[10:11], -v[14:15]
	v_add_f64 v[20:21], v[12:13], v[18:19]
	v_add_f64 v[24:25], v[20:21], -v[12:13]
	v_add_f64 v[22:23], v[14:15], v[20:21]
	v_add_f64 v[18:19], v[18:19], -v[24:25]
	v_add_f64 v[24:25], v[20:21], -v[24:25]
	v_ldexp_f64 v[6:7], v[22:23], -2
	v_add_f64 v[24:25], v[12:13], -v[24:25]
	v_fma_f64 v[12:13], v[4:5], v[10:11], -v[12:13]
	v_add_f64 v[4:5], v[22:23], -v[14:15]
	v_fract_f64_e32 v[8:9], v[6:7]
	v_cmp_neq_f64_e64 s[6:7], |v[6:7]|, s[84:85]
	v_add_f64 v[18:19], v[18:19], v[24:25]
	v_mul_f64 v[24:25], v[2:3], v[10:11]
	v_add_f64 v[14:15], v[20:21], -v[4:5]
	v_ldexp_f64 v[8:9], v[8:9], 2
	v_add_f64 v[26:27], v[24:25], v[12:13]
	v_fma_f64 v[2:3], v[2:3], v[10:11], -v[24:25]
	v_cndmask_b32_e64 v7, 0, v9, s[6:7]
	v_cndmask_b32_e64 v6, 0, v8, s[6:7]
	v_add_f64 v[28:29], v[26:27], v[18:19]
	v_add_f64 v[4:5], v[14:15], v[28:29]
	v_add_f64 v[20:21], v[28:29], -v[26:27]
	v_add_f64 v[8:9], v[4:5], v[6:7]
	v_add_f64 v[18:19], v[18:19], -v[20:21]
	v_add_f64 v[20:21], v[28:29], -v[20:21]
	;; [unrolled: 1-line block ×3, first 2 shown]
	v_cmp_gt_f64_e64 s[6:7], 0, v[8:9]
	v_add_f64 v[20:21], v[26:27], -v[20:21]
	v_add_f64 v[14:15], v[28:29], -v[14:15]
	buffer_load_dword v29, off, s[0:3], 0 offset:108 ; 4-byte Folded Reload
	buffer_load_dword v30, off, s[0:3], 0 offset:112 ; 4-byte Folded Reload
	v_cndmask_b32_e64 v56, 0, v54, s[6:7]
	v_add_f64 v[6:7], v[6:7], v[55:56]
	v_add_f64 v[18:19], v[18:19], v[20:21]
	v_add_f64 v[20:21], v[26:27], -v[24:25]
	v_add_f64 v[8:9], v[4:5], v[6:7]
	v_add_f64 v[12:13], v[12:13], -v[20:21]
	v_add_f64 v[20:21], v[26:27], -v[20:21]
	v_cvt_i32_f64_e32 v10, v[8:9]
	v_add_f64 v[20:21], v[24:25], -v[20:21]
	v_cvt_f64_i32_e32 v[8:9], v10
	v_add_f64 v[6:7], v[6:7], -v[8:9]
	v_add_f64 v[12:13], v[12:13], v[20:21]
	v_add_f64 v[8:9], v[4:5], v[6:7]
	;; [unrolled: 1-line block ×3, first 2 shown]
	v_add_f64 v[6:7], v[8:9], -v[6:7]
	v_cmp_le_f64_e64 s[6:7], 0.5, v[8:9]
	v_add_f64 v[2:3], v[2:3], v[12:13]
	v_add_f64 v[4:5], v[4:5], -v[6:7]
	v_add_f64 v[2:3], v[14:15], v[2:3]
	v_addc_co_u32_e64 v14, s[8:9], 0, v10, s[6:7]
	v_add_f64 v[2:3], v[2:3], v[4:5]
	v_mov_b32_e32 v4, 0x3ff00000
	v_cndmask_b32_e64 v56, 0, v4, s[6:7]
	v_add_f64 v[4:5], v[8:9], -v[55:56]
	v_mov_b32_e32 v56, 0
	v_add_f64 v[6:7], v[4:5], v[2:3]
	v_add_f64 v[4:5], v[6:7], -v[4:5]
	v_add_f64 v[2:3], v[2:3], -v[4:5]
	v_mul_f64 v[4:5], v[6:7], s[86:87]
	v_fma_f64 v[8:9], v[6:7], s[86:87], -v[4:5]
	v_fma_f64 v[6:7], v[6:7], s[38:39], v[8:9]
	v_fma_f64 v[2:3], v[2:3], s[86:87], v[6:7]
	v_add_f64 v[10:11], v[4:5], v[2:3]
	v_add_f64 v[4:5], v[10:11], -v[4:5]
	v_add_f64 v[12:13], v[2:3], -v[4:5]
.LBB0_49:                               ;   in Loop: Header=BB0_34 Depth=1
	s_andn2_saveexec_b64 s[6:7], s[10:11]
	s_cbranch_execz .LBB0_51
; %bb.50:                               ;   in Loop: Header=BB0_34 Depth=1
	v_mul_f64 v[2:3], |v[0:1]|, s[40:41]
	s_mov_b32 s36, s86
	s_mov_b32 s8, s42
	;; [unrolled: 1-line block ×3, first 2 shown]
	v_rndne_f64_e32 v[2:3], v[2:3]
	v_fma_f64 v[4:5], v[2:3], s[36:37], |v[0:1]|
	v_mul_f64 v[6:7], v[2:3], s[42:43]
	v_cvt_i32_f64_e32 v14, v[2:3]
	v_add_f64 v[8:9], v[4:5], v[6:7]
	v_add_f64 v[10:11], v[4:5], -v[8:9]
	v_fma_f64 v[4:5], v[2:3], s[42:43], v[4:5]
	v_add_f64 v[10:11], v[10:11], v[6:7]
	v_add_f64 v[8:9], v[8:9], -v[4:5]
	v_fma_f64 v[6:7], v[2:3], s[8:9], v[6:7]
	v_add_f64 v[8:9], v[8:9], v[10:11]
	v_add_f64 v[6:7], v[8:9], -v[6:7]
	v_fma_f64 v[6:7], v[2:3], s[44:45], v[6:7]
	v_add_f64 v[10:11], v[4:5], v[6:7]
	v_add_f64 v[4:5], v[10:11], -v[4:5]
	v_add_f64 v[12:13], v[6:7], -v[4:5]
.LBB0_51:                               ;   in Loop: Header=BB0_34 Depth=1
	s_or_b64 exec, exec, s[6:7]
	buffer_load_dword v15, off, s[0:3], 0 offset:116 ; 4-byte Folded Reload
	buffer_load_dword v16, off, s[0:3], 0 offset:120 ; 4-byte Folded Reload
	v_mul_f64 v[2:3], v[10:11], v[10:11]
	s_mov_b32 s56, s94
	v_and_b32_e32 v0, 1, v14
	v_cmp_eq_u32_e64 s[6:7], 0, v0
                                        ; implicit-def: $vgpr20
	v_mul_f64 v[4:5], v[2:3], 0.5
	v_add_f64 v[6:7], -v[4:5], 1.0
	v_add_f64 v[8:9], -v[6:7], 1.0
	v_add_f64 v[4:5], v[8:9], -v[4:5]
	v_mul_f64 v[8:9], v[2:3], v[2:3]
	v_fma_f64 v[4:5], v[10:11], -v[12:13], v[4:5]
	s_waitcnt vmcnt(0)
	v_fma_f64 v[15:16], v[2:3], s[48:49], v[15:16]
	v_fma_f64 v[15:16], v[2:3], v[15:16], s[50:51]
	;; [unrolled: 1-line block ×6, first 2 shown]
	v_mul_f64 v[8:9], v[10:11], -v[2:3]
	v_mul_f64 v[15:16], v[12:13], 0.5
	v_add_f64 v[4:5], v[6:7], v[4:5]
	buffer_load_dword v6, off, s[0:3], 0 offset:124 ; 4-byte Folded Reload
	buffer_load_dword v7, off, s[0:3], 0 offset:128 ; 4-byte Folded Reload
	s_waitcnt vmcnt(0)
	v_fma_f64 v[6:7], v[2:3], s[60:61], v[6:7]
	v_fma_f64 v[6:7], v[2:3], v[6:7], s[62:63]
	;; [unrolled: 1-line block ×5, first 2 shown]
	v_fma_f64 v[2:3], v[2:3], v[6:7], -v[12:13]
	v_fma_f64 v[2:3], v[8:9], s[56:57], v[2:3]
	v_add_f64 v[2:3], v[10:11], -v[2:3]
	v_cndmask_b32_e64 v0, v4, v2, s[6:7]
	v_cndmask_b32_e64 v2, v5, v3, s[6:7]
	v_lshlrev_b32_e32 v3, 30, v14
	v_xor_b32_e32 v1, v3, v1
	v_and_b32_e32 v1, 0x80000000, v1
	v_xor_b32_e32 v1, v2, v1
	v_cndmask_b32_e32 v0, 0, v0, vcc
	v_mov_b32_e32 v2, 0xfff80000
	v_cndmask_b32_e64 v1, v2, -v1, vcc
	buffer_store_dword v0, off, s[0:3], 0 offset:24
	buffer_store_dword v1, off, s[0:3], 0 offset:28
	global_load_dwordx2 v[0:1], v[45:46], off offset:16
	s_mov_b32 s6, 0
	s_mov_b32 s7, 0x40080000
	s_waitcnt vmcnt(0)
	v_mul_f64 v[2:3], v[31:32], v[0:1]
	v_mul_f64 v[4:5], v[2:3], s[6:7]
	v_fma_f64 v[2:3], -v[2:3], v[2:3], s[6:7]
	v_div_scale_f64 v[6:7], s[6:7], v[2:3], v[2:3], v[4:5]
	v_rcp_f64_e32 v[8:9], v[6:7]
	v_fma_f64 v[10:11], -v[6:7], v[8:9], 1.0
	v_fma_f64 v[8:9], v[8:9], v[10:11], v[8:9]
	v_fma_f64 v[10:11], -v[6:7], v[8:9], 1.0
	v_fma_f64 v[8:9], v[8:9], v[10:11], v[8:9]
	v_div_scale_f64 v[10:11], vcc, v[4:5], v[2:3], v[4:5]
	v_mul_f64 v[12:13], v[10:11], v[8:9]
	v_fma_f64 v[6:7], -v[6:7], v[12:13], v[10:11]
	s_nop 1
	v_div_fmas_f64 v[6:7], v[6:7], v[8:9], v[12:13]
	v_div_fixup_f64 v[2:3], v[6:7], v[2:3], v[4:5]
	v_and_b32_e32 v5, 0x7fffffff, v3
	v_mov_b32_e32 v4, v2
	v_div_scale_f64 v[6:7], s[8:9], v[4:5], v[4:5], 1.0
	v_cmp_gt_f64_e64 s[6:7], |v[2:3]|, 1.0
	s_mov_b32 s8, 0xb5e68a13
	s_mov_b32 s9, 0x3eeba404
	v_rcp_f64_e32 v[8:9], v[6:7]
	v_fma_f64 v[10:11], -v[6:7], v[8:9], 1.0
	v_fma_f64 v[8:9], v[8:9], v[10:11], v[8:9]
	v_fma_f64 v[10:11], -v[6:7], v[8:9], 1.0
	v_fma_f64 v[8:9], v[8:9], v[10:11], v[8:9]
	v_div_scale_f64 v[10:11], vcc, 1.0, v[4:5], 1.0
	v_mul_f64 v[12:13], v[10:11], v[8:9]
	v_fma_f64 v[6:7], -v[6:7], v[12:13], v[10:11]
                                        ; implicit-def: $vgpr10_vgpr11
	s_nop 1
	v_div_fmas_f64 v[6:7], v[6:7], v[8:9], v[12:13]
	buffer_load_dword v8, off, s[0:3], 0 offset:164 ; 4-byte Folded Reload
	buffer_load_dword v9, off, s[0:3], 0 offset:168 ; 4-byte Folded Reload
                                        ; implicit-def: $vgpr12_vgpr13
	v_div_fixup_f64 v[6:7], v[6:7], |v[2:3]|, 1.0
	v_cndmask_b32_e64 v5, v5, v7, s[6:7]
	v_cndmask_b32_e64 v4, v2, v6, s[6:7]
	v_mul_f64 v[6:7], v[4:5], v[4:5]
	s_waitcnt vmcnt(0)
	v_fma_f64 v[8:9], v[6:7], s[8:9], v[8:9]
	s_mov_b32 s8, 0x69efb384
	s_mov_b32 s9, 0x3f4b2bb0
	v_fma_f64 v[8:9], v[6:7], v[8:9], s[8:9]
	s_mov_b32 s8, 0xaf56de9b
	s_mov_b32 s9, 0xbf67952d
	;; [unrolled: 3-line block ×18, first 2 shown]
	v_fma_f64 v[8:9], v[6:7], v[8:9], s[8:9]
	v_mul_f64 v[6:7], v[6:7], v[8:9]
	v_fma_f64 v[4:5], v[4:5], v[6:7], v[4:5]
	buffer_load_dword v6, off, s[0:3], 0 offset:172 ; 4-byte Folded Reload
	buffer_load_dword v7, off, s[0:3], 0 offset:176 ; 4-byte Folded Reload
	s_waitcnt vmcnt(0)
	v_fma_f64 v[6:7], s[26:27], v[6:7], -v[4:5]
	v_cndmask_b32_e64 v2, v4, v6, s[6:7]
	v_cndmask_b32_e64 v4, v5, v7, s[6:7]
	v_bfi_b32 v3, s33, v4, v3
	v_fma_f64 v[0:1], v[31:32], v[0:1], -v[2:3]
	v_add_f64 v[0:1], v[0:1], v[0:1]
	v_trig_preop_f64 v[6:7], |v[0:1]|, 0
	v_trig_preop_f64 v[4:5], |v[0:1]|, 1
	v_trig_preop_f64 v[2:3], |v[0:1]|, 2
	v_cmp_nlt_f64_e64 s[8:9], |v[0:1]|, s[80:81]
	v_ldexp_f64 v[8:9], |v[0:1]|, s12
	v_and_b32_e32 v16, 0x7fffffff, v1
	s_and_saveexec_b64 s[6:7], s[8:9]
	s_xor_b64 s[10:11], exec, s[6:7]
	s_cbranch_execz .LBB0_53
; %bb.52:                               ;   in Loop: Header=BB0_34 Depth=1
	v_cmp_ge_f64_e64 vcc, |v[0:1]|, s[82:83]
	v_cndmask_b32_e32 v15, v16, v9, vcc
	v_cndmask_b32_e32 v14, v0, v8, vcc
	v_mul_f64 v[20:21], v[6:7], v[14:15]
	v_mul_f64 v[10:11], v[4:5], v[14:15]
	;; [unrolled: 1-line block ×3, first 2 shown]
	v_fma_f64 v[22:23], v[6:7], v[14:15], -v[20:21]
	v_add_f64 v[24:25], v[10:11], v[22:23]
	v_add_f64 v[28:29], v[24:25], -v[10:11]
	v_add_f64 v[26:27], v[20:21], v[24:25]
	v_add_f64 v[22:23], v[22:23], -v[28:29]
	v_add_f64 v[28:29], v[24:25], -v[28:29]
	v_ldexp_f64 v[12:13], v[26:27], -2
	v_add_f64 v[28:29], v[10:11], -v[28:29]
	v_fract_f64_e32 v[18:19], v[12:13]
	v_cmp_neq_f64_e64 vcc, |v[12:13]|, s[84:85]
	v_add_f64 v[22:23], v[22:23], v[28:29]
	v_fma_f64 v[28:29], v[4:5], v[14:15], -v[10:11]
	v_add_f64 v[10:11], v[26:27], -v[20:21]
	v_ldexp_f64 v[18:19], v[18:19], 2
	v_fma_f64 v[14:15], v[2:3], v[14:15], -v[30:31]
	v_add_f64 v[32:33], v[30:31], v[28:29]
	v_add_f64 v[20:21], v[24:25], -v[10:11]
	v_cndmask_b32_e32 v13, 0, v19, vcc
	v_cndmask_b32_e32 v12, 0, v18, vcc
	v_add_f64 v[34:35], v[32:33], v[22:23]
	v_add_f64 v[24:25], v[34:35], -v[32:33]
	v_add_f64 v[10:11], v[20:21], v[34:35]
	v_add_f64 v[22:23], v[22:23], -v[24:25]
	v_add_f64 v[24:25], v[34:35], -v[24:25]
	v_add_f64 v[18:19], v[10:11], v[12:13]
	v_add_f64 v[20:21], v[10:11], -v[20:21]
	v_add_f64 v[24:25], v[32:33], -v[24:25]
	v_cmp_gt_f64_e32 vcc, 0, v[18:19]
	v_add_f64 v[20:21], v[34:35], -v[20:21]
	v_add_f64 v[22:23], v[22:23], v[24:25]
	v_add_f64 v[24:25], v[32:33], -v[30:31]
	v_cndmask_b32_e32 v56, 0, v54, vcc
	v_add_f64 v[12:13], v[12:13], v[55:56]
	v_add_f64 v[26:27], v[28:29], -v[24:25]
	v_add_f64 v[24:25], v[32:33], -v[24:25]
	v_add_f64 v[18:19], v[10:11], v[12:13]
	v_add_f64 v[24:25], v[30:31], -v[24:25]
	buffer_load_dword v29, off, s[0:3], 0 offset:108 ; 4-byte Folded Reload
	buffer_load_dword v30, off, s[0:3], 0 offset:112 ; 4-byte Folded Reload
	;; [unrolled: 1-line block ×4, first 2 shown]
	v_add_f64 v[24:25], v[26:27], v[24:25]
	v_add_f64 v[22:23], v[24:25], v[22:23]
	;; [unrolled: 1-line block ×4, first 2 shown]
	v_cvt_i32_f64_e32 v20, v[18:19]
	v_cvt_f64_i32_e32 v[18:19], v20
	v_add_f64 v[12:13], v[12:13], -v[18:19]
	v_add_f64 v[18:19], v[10:11], v[12:13]
	v_add_f64 v[12:13], v[18:19], -v[12:13]
	v_cmp_le_f64_e32 vcc, 0.5, v[18:19]
	v_add_f64 v[10:11], v[10:11], -v[12:13]
	v_mov_b32_e32 v12, 0x3ff00000
	v_cndmask_b32_e32 v56, 0, v12, vcc
	v_add_f64 v[12:13], v[18:19], -v[55:56]
	v_addc_co_u32_e64 v20, s[6:7], 0, v20, vcc
	v_mov_b32_e32 v56, 0
	v_add_f64 v[10:11], v[14:15], v[10:11]
	v_add_f64 v[14:15], v[12:13], v[10:11]
	v_add_f64 v[12:13], v[14:15], -v[12:13]
	v_add_f64 v[10:11], v[10:11], -v[12:13]
	v_mul_f64 v[12:13], v[14:15], s[86:87]
	v_fma_f64 v[18:19], v[14:15], s[86:87], -v[12:13]
	v_fma_f64 v[14:15], v[14:15], s[38:39], v[18:19]
	v_fma_f64 v[14:15], v[10:11], s[86:87], v[14:15]
	v_add_f64 v[10:11], v[12:13], v[14:15]
	v_add_f64 v[12:13], v[10:11], -v[12:13]
	v_add_f64 v[12:13], v[14:15], -v[12:13]
.LBB0_53:                               ;   in Loop: Header=BB0_34 Depth=1
	s_andn2_saveexec_b64 s[6:7], s[10:11]
	s_cbranch_execz .LBB0_55
; %bb.54:                               ;   in Loop: Header=BB0_34 Depth=1
	v_mul_f64 v[10:11], |v[0:1]|, s[40:41]
	s_mov_b32 s36, s86
	s_mov_b32 s10, s42
	;; [unrolled: 1-line block ×3, first 2 shown]
	v_rndne_f64_e32 v[14:15], v[10:11]
	v_fma_f64 v[10:11], v[14:15], s[36:37], |v[0:1]|
	v_mul_f64 v[12:13], v[14:15], s[42:43]
	v_fma_f64 v[22:23], v[14:15], s[42:43], v[10:11]
	v_add_f64 v[18:19], v[10:11], v[12:13]
	v_add_f64 v[20:21], v[10:11], -v[18:19]
	v_add_f64 v[18:19], v[18:19], -v[22:23]
	v_add_f64 v[10:11], v[20:21], v[12:13]
	v_fma_f64 v[12:13], v[14:15], s[10:11], v[12:13]
	v_cvt_i32_f64_e32 v20, v[14:15]
	v_add_f64 v[10:11], v[18:19], v[10:11]
	v_add_f64 v[10:11], v[10:11], -v[12:13]
	v_fma_f64 v[12:13], v[14:15], s[44:45], v[10:11]
	v_add_f64 v[10:11], v[22:23], v[12:13]
	v_add_f64 v[18:19], v[10:11], -v[22:23]
	v_add_f64 v[12:13], v[12:13], -v[18:19]
.LBB0_55:                               ;   in Loop: Header=BB0_34 Depth=1
	s_or_b64 exec, exec, s[6:7]
	buffer_load_dword v25, off, s[0:3], 0 offset:116 ; 4-byte Folded Reload
	buffer_load_dword v26, off, s[0:3], 0 offset:120 ; 4-byte Folded Reload
	v_mul_f64 v[18:19], v[10:11], v[10:11]
	s_mov_b32 s56, s94
	v_mul_f64 v[14:15], v[18:19], 0.5
	v_add_f64 v[21:22], -v[14:15], 1.0
	v_add_f64 v[23:24], -v[21:22], 1.0
	v_add_f64 v[14:15], v[23:24], -v[14:15]
	v_mul_f64 v[23:24], v[18:19], v[18:19]
	v_fma_f64 v[14:15], v[10:11], -v[12:13], v[14:15]
	s_waitcnt vmcnt(0)
	v_fma_f64 v[25:26], v[18:19], s[48:49], v[25:26]
	v_fma_f64 v[25:26], v[18:19], v[25:26], s[50:51]
	v_fma_f64 v[25:26], v[18:19], v[25:26], s[52:53]
	v_fma_f64 v[25:26], v[18:19], v[25:26], s[54:55]
	v_fma_f64 v[25:26], v[18:19], v[25:26], s[94:95]
	v_fma_f64 v[14:15], v[23:24], v[25:26], v[14:15]
	v_mul_f64 v[23:24], v[10:11], -v[18:19]
	v_mul_f64 v[25:26], v[12:13], 0.5
	v_add_f64 v[14:15], v[21:22], v[14:15]
	buffer_load_dword v21, off, s[0:3], 0 offset:124 ; 4-byte Folded Reload
	buffer_load_dword v22, off, s[0:3], 0 offset:128 ; 4-byte Folded Reload
	s_waitcnt vmcnt(0)
	v_fma_f64 v[21:22], v[18:19], s[60:61], v[21:22]
	v_fma_f64 v[21:22], v[18:19], v[21:22], s[62:63]
	;; [unrolled: 1-line block ×5, first 2 shown]
	v_fma_f64 v[12:13], v[18:19], v[21:22], -v[12:13]
	v_fma_f64 v[12:13], v[23:24], s[56:57], v[12:13]
	v_add_f64 v[10:11], v[10:11], -v[12:13]
	v_and_b32_e32 v12, 1, v20
	v_cmp_eq_u32_e32 vcc, 0, v12
	v_lshlrev_b32_e32 v12, 30, v20
	v_and_b32_e32 v12, 0x80000000, v12
	v_xor_b32_e32 v11, 0x80000000, v11
	v_cndmask_b32_e32 v10, v10, v14, vcc
	v_cndmask_b32_e32 v11, v11, v15, vcc
	v_cmp_class_f64_e64 vcc, v[0:1], s16
	v_xor_b32_e32 v11, v11, v12
                                        ; implicit-def: $vgpr14
                                        ; implicit-def: $vgpr12_vgpr13
	v_cndmask_b32_e32 v11, v41, v11, vcc
	v_cndmask_b32_e32 v10, 0, v10, vcc
	buffer_store_dword v10, off, s[0:3], 0 offset:32
	buffer_store_dword v11, off, s[0:3], 0 offset:36
                                        ; implicit-def: $vgpr10_vgpr11
	s_and_saveexec_b64 s[6:7], s[8:9]
	s_xor_b64 s[10:11], exec, s[6:7]
	s_cbranch_execz .LBB0_57
; %bb.56:                               ;   in Loop: Header=BB0_34 Depth=1
	v_cmp_ge_f64_e64 s[6:7], |v[0:1]|, s[82:83]
	v_cndmask_b32_e64 v11, v16, v9, s[6:7]
	v_cndmask_b32_e64 v10, v0, v8, s[6:7]
	v_mul_f64 v[14:15], v[6:7], v[10:11]
	v_mul_f64 v[12:13], v[4:5], v[10:11]
	v_fma_f64 v[18:19], v[6:7], v[10:11], -v[14:15]
	v_add_f64 v[20:21], v[12:13], v[18:19]
	v_add_f64 v[24:25], v[20:21], -v[12:13]
	v_add_f64 v[22:23], v[14:15], v[20:21]
	v_add_f64 v[18:19], v[18:19], -v[24:25]
	v_add_f64 v[24:25], v[20:21], -v[24:25]
	v_ldexp_f64 v[6:7], v[22:23], -2
	v_add_f64 v[24:25], v[12:13], -v[24:25]
	v_fma_f64 v[12:13], v[4:5], v[10:11], -v[12:13]
	v_add_f64 v[4:5], v[22:23], -v[14:15]
	v_fract_f64_e32 v[8:9], v[6:7]
	v_cmp_neq_f64_e64 s[6:7], |v[6:7]|, s[84:85]
	v_add_f64 v[18:19], v[18:19], v[24:25]
	v_mul_f64 v[24:25], v[2:3], v[10:11]
	v_add_f64 v[14:15], v[20:21], -v[4:5]
	v_ldexp_f64 v[8:9], v[8:9], 2
	v_add_f64 v[26:27], v[24:25], v[12:13]
	v_fma_f64 v[2:3], v[2:3], v[10:11], -v[24:25]
	v_cndmask_b32_e64 v7, 0, v9, s[6:7]
	v_cndmask_b32_e64 v6, 0, v8, s[6:7]
	v_add_f64 v[28:29], v[26:27], v[18:19]
	v_add_f64 v[4:5], v[14:15], v[28:29]
	v_add_f64 v[20:21], v[28:29], -v[26:27]
	v_add_f64 v[8:9], v[4:5], v[6:7]
	v_add_f64 v[18:19], v[18:19], -v[20:21]
	v_add_f64 v[20:21], v[28:29], -v[20:21]
	;; [unrolled: 1-line block ×3, first 2 shown]
	v_cmp_gt_f64_e64 s[6:7], 0, v[8:9]
	v_add_f64 v[20:21], v[26:27], -v[20:21]
	v_add_f64 v[14:15], v[28:29], -v[14:15]
	buffer_load_dword v29, off, s[0:3], 0 offset:108 ; 4-byte Folded Reload
	buffer_load_dword v30, off, s[0:3], 0 offset:112 ; 4-byte Folded Reload
	v_cndmask_b32_e64 v56, 0, v54, s[6:7]
	v_add_f64 v[6:7], v[6:7], v[55:56]
	v_add_f64 v[18:19], v[18:19], v[20:21]
	v_add_f64 v[20:21], v[26:27], -v[24:25]
	v_add_f64 v[8:9], v[4:5], v[6:7]
	v_add_f64 v[12:13], v[12:13], -v[20:21]
	v_add_f64 v[20:21], v[26:27], -v[20:21]
	v_cvt_i32_f64_e32 v10, v[8:9]
	v_add_f64 v[20:21], v[24:25], -v[20:21]
	v_cvt_f64_i32_e32 v[8:9], v10
	v_add_f64 v[6:7], v[6:7], -v[8:9]
	v_add_f64 v[12:13], v[12:13], v[20:21]
	v_add_f64 v[8:9], v[4:5], v[6:7]
	;; [unrolled: 1-line block ×3, first 2 shown]
	v_add_f64 v[6:7], v[8:9], -v[6:7]
	v_cmp_le_f64_e64 s[6:7], 0.5, v[8:9]
	v_add_f64 v[2:3], v[2:3], v[12:13]
	v_add_f64 v[4:5], v[4:5], -v[6:7]
	v_add_f64 v[2:3], v[14:15], v[2:3]
	v_addc_co_u32_e64 v14, s[8:9], 0, v10, s[6:7]
	v_add_f64 v[2:3], v[2:3], v[4:5]
	v_mov_b32_e32 v4, 0x3ff00000
	v_cndmask_b32_e64 v56, 0, v4, s[6:7]
	v_add_f64 v[4:5], v[8:9], -v[55:56]
	v_mov_b32_e32 v56, 0
	v_add_f64 v[6:7], v[4:5], v[2:3]
	v_add_f64 v[4:5], v[6:7], -v[4:5]
	v_add_f64 v[2:3], v[2:3], -v[4:5]
	v_mul_f64 v[4:5], v[6:7], s[86:87]
	v_fma_f64 v[8:9], v[6:7], s[86:87], -v[4:5]
	v_fma_f64 v[6:7], v[6:7], s[38:39], v[8:9]
	v_fma_f64 v[2:3], v[2:3], s[86:87], v[6:7]
	v_add_f64 v[10:11], v[4:5], v[2:3]
	v_add_f64 v[4:5], v[10:11], -v[4:5]
	v_add_f64 v[12:13], v[2:3], -v[4:5]
.LBB0_57:                               ;   in Loop: Header=BB0_34 Depth=1
	s_andn2_saveexec_b64 s[6:7], s[10:11]
	s_cbranch_execz .LBB0_59
; %bb.58:                               ;   in Loop: Header=BB0_34 Depth=1
	v_mul_f64 v[2:3], |v[0:1]|, s[40:41]
	s_mov_b32 s36, s86
	s_mov_b32 s8, s42
	;; [unrolled: 1-line block ×3, first 2 shown]
	v_rndne_f64_e32 v[2:3], v[2:3]
	v_fma_f64 v[4:5], v[2:3], s[36:37], |v[0:1]|
	v_mul_f64 v[6:7], v[2:3], s[42:43]
	v_cvt_i32_f64_e32 v14, v[2:3]
	v_add_f64 v[8:9], v[4:5], v[6:7]
	v_add_f64 v[10:11], v[4:5], -v[8:9]
	v_fma_f64 v[4:5], v[2:3], s[42:43], v[4:5]
	v_add_f64 v[10:11], v[10:11], v[6:7]
	v_add_f64 v[8:9], v[8:9], -v[4:5]
	v_fma_f64 v[6:7], v[2:3], s[8:9], v[6:7]
	;; [unrolled: 3-line block ×3, first 2 shown]
	v_add_f64 v[10:11], v[4:5], v[6:7]
	v_add_f64 v[4:5], v[10:11], -v[4:5]
	v_add_f64 v[12:13], v[6:7], -v[4:5]
.LBB0_59:                               ;   in Loop: Header=BB0_34 Depth=1
	s_or_b64 exec, exec, s[6:7]
	buffer_load_dword v15, off, s[0:3], 0 offset:116 ; 4-byte Folded Reload
	buffer_load_dword v16, off, s[0:3], 0 offset:120 ; 4-byte Folded Reload
	v_mul_f64 v[2:3], v[10:11], v[10:11]
	s_mov_b32 s56, s94
	v_and_b32_e32 v0, 1, v14
	v_cmp_eq_u32_e64 s[6:7], 0, v0
	s_mov_b32 s8, 0
	s_mov_b32 s9, 0xc0180000
                                        ; implicit-def: $vgpr20
	v_mul_f64 v[4:5], v[2:3], 0.5
	v_add_f64 v[6:7], -v[4:5], 1.0
	v_add_f64 v[8:9], -v[6:7], 1.0
	v_add_f64 v[4:5], v[8:9], -v[4:5]
	v_mul_f64 v[8:9], v[2:3], v[2:3]
	v_fma_f64 v[4:5], v[10:11], -v[12:13], v[4:5]
	s_waitcnt vmcnt(0)
	v_fma_f64 v[15:16], v[2:3], s[48:49], v[15:16]
	v_fma_f64 v[15:16], v[2:3], v[15:16], s[50:51]
	;; [unrolled: 1-line block ×6, first 2 shown]
	v_mul_f64 v[8:9], v[10:11], -v[2:3]
	v_mul_f64 v[15:16], v[12:13], 0.5
	v_add_f64 v[4:5], v[6:7], v[4:5]
	buffer_load_dword v6, off, s[0:3], 0 offset:124 ; 4-byte Folded Reload
	buffer_load_dword v7, off, s[0:3], 0 offset:128 ; 4-byte Folded Reload
	s_waitcnt vmcnt(0)
	v_fma_f64 v[6:7], v[2:3], s[60:61], v[6:7]
	v_fma_f64 v[6:7], v[2:3], v[6:7], s[62:63]
	;; [unrolled: 1-line block ×5, first 2 shown]
	v_fma_f64 v[2:3], v[2:3], v[6:7], -v[12:13]
	v_fma_f64 v[2:3], v[8:9], s[56:57], v[2:3]
	v_add_f64 v[2:3], v[10:11], -v[2:3]
	v_cndmask_b32_e64 v0, v4, v2, s[6:7]
	v_cndmask_b32_e64 v2, v5, v3, s[6:7]
	v_lshlrev_b32_e32 v3, 30, v14
	v_xor_b32_e32 v1, v3, v1
	v_and_b32_e32 v1, 0x80000000, v1
	v_xor_b32_e32 v1, v2, v1
	v_cndmask_b32_e32 v0, 0, v0, vcc
	v_mov_b32_e32 v2, 0xfff80000
	v_cndmask_b32_e64 v1, v2, -v1, vcc
	buffer_store_dword v0, off, s[0:3], 0 offset:40
	buffer_store_dword v1, off, s[0:3], 0 offset:44
	global_load_dwordx2 v[0:1], v[45:46], off offset:24
	s_mov_b32 s6, 0
	s_mov_b32 s7, 0x402e0000
	s_waitcnt vmcnt(0)
	v_mul_f64 v[2:3], v[31:32], v[0:1]
	v_fma_f64 v[4:5], -v[2:3], v[2:3], s[6:7]
	v_mul_f64 v[6:7], v[2:3], s[8:9]
	v_mul_f64 v[4:5], v[2:3], v[4:5]
	v_fma_f64 v[2:3], v[2:3], v[6:7], s[6:7]
	v_div_scale_f64 v[6:7], s[6:7], v[2:3], v[2:3], v[4:5]
	v_rcp_f64_e32 v[8:9], v[6:7]
	v_fma_f64 v[10:11], -v[6:7], v[8:9], 1.0
	v_fma_f64 v[8:9], v[8:9], v[10:11], v[8:9]
	v_fma_f64 v[10:11], -v[6:7], v[8:9], 1.0
	v_fma_f64 v[8:9], v[8:9], v[10:11], v[8:9]
	v_div_scale_f64 v[10:11], vcc, v[4:5], v[2:3], v[4:5]
	v_mul_f64 v[12:13], v[10:11], v[8:9]
	v_fma_f64 v[6:7], -v[6:7], v[12:13], v[10:11]
	s_nop 1
	v_div_fmas_f64 v[6:7], v[6:7], v[8:9], v[12:13]
	v_div_fixup_f64 v[2:3], v[6:7], v[2:3], v[4:5]
	v_and_b32_e32 v5, 0x7fffffff, v3
	v_mov_b32_e32 v4, v2
	v_div_scale_f64 v[6:7], s[8:9], v[4:5], v[4:5], 1.0
	v_cmp_gt_f64_e64 s[6:7], |v[2:3]|, 1.0
	s_mov_b32 s8, 0xb5e68a13
	s_mov_b32 s9, 0x3eeba404
	v_rcp_f64_e32 v[8:9], v[6:7]
	v_fma_f64 v[10:11], -v[6:7], v[8:9], 1.0
	v_fma_f64 v[8:9], v[8:9], v[10:11], v[8:9]
	v_fma_f64 v[10:11], -v[6:7], v[8:9], 1.0
	v_fma_f64 v[8:9], v[8:9], v[10:11], v[8:9]
	v_div_scale_f64 v[10:11], vcc, 1.0, v[4:5], 1.0
	v_mul_f64 v[12:13], v[10:11], v[8:9]
	v_fma_f64 v[6:7], -v[6:7], v[12:13], v[10:11]
                                        ; implicit-def: $vgpr10_vgpr11
	s_nop 1
	v_div_fmas_f64 v[6:7], v[6:7], v[8:9], v[12:13]
	buffer_load_dword v8, off, s[0:3], 0 offset:164 ; 4-byte Folded Reload
	buffer_load_dword v9, off, s[0:3], 0 offset:168 ; 4-byte Folded Reload
                                        ; implicit-def: $vgpr12_vgpr13
	v_div_fixup_f64 v[6:7], v[6:7], |v[2:3]|, 1.0
	v_cndmask_b32_e64 v5, v5, v7, s[6:7]
	v_cndmask_b32_e64 v4, v2, v6, s[6:7]
	v_mul_f64 v[6:7], v[4:5], v[4:5]
	s_waitcnt vmcnt(0)
	v_fma_f64 v[8:9], v[6:7], s[8:9], v[8:9]
	s_mov_b32 s8, 0x69efb384
	s_mov_b32 s9, 0x3f4b2bb0
	v_fma_f64 v[8:9], v[6:7], v[8:9], s[8:9]
	s_mov_b32 s8, 0xaf56de9b
	s_mov_b32 s9, 0xbf67952d
	;; [unrolled: 3-line block ×18, first 2 shown]
	v_fma_f64 v[8:9], v[6:7], v[8:9], s[8:9]
	v_mul_f64 v[6:7], v[6:7], v[8:9]
	v_fma_f64 v[4:5], v[4:5], v[6:7], v[4:5]
	buffer_load_dword v6, off, s[0:3], 0 offset:172 ; 4-byte Folded Reload
	buffer_load_dword v7, off, s[0:3], 0 offset:176 ; 4-byte Folded Reload
	s_waitcnt vmcnt(0)
	v_fma_f64 v[6:7], s[26:27], v[6:7], -v[4:5]
	v_cndmask_b32_e64 v2, v4, v6, s[6:7]
	v_cndmask_b32_e64 v4, v5, v7, s[6:7]
	v_bfi_b32 v3, s33, v4, v3
	v_fma_f64 v[0:1], v[31:32], v[0:1], -v[2:3]
	v_add_f64 v[0:1], v[0:1], v[0:1]
	v_trig_preop_f64 v[6:7], |v[0:1]|, 0
	v_trig_preop_f64 v[4:5], |v[0:1]|, 1
	;; [unrolled: 1-line block ×3, first 2 shown]
	v_cmp_nlt_f64_e64 s[8:9], |v[0:1]|, s[80:81]
	v_ldexp_f64 v[8:9], |v[0:1]|, s12
	v_and_b32_e32 v16, 0x7fffffff, v1
	s_and_saveexec_b64 s[6:7], s[8:9]
	s_xor_b64 s[10:11], exec, s[6:7]
	s_cbranch_execz .LBB0_61
; %bb.60:                               ;   in Loop: Header=BB0_34 Depth=1
	v_cmp_ge_f64_e64 vcc, |v[0:1]|, s[82:83]
	v_cndmask_b32_e32 v15, v16, v9, vcc
	v_cndmask_b32_e32 v14, v0, v8, vcc
	v_mul_f64 v[20:21], v[6:7], v[14:15]
	v_mul_f64 v[10:11], v[4:5], v[14:15]
	;; [unrolled: 1-line block ×3, first 2 shown]
	v_fma_f64 v[22:23], v[6:7], v[14:15], -v[20:21]
	v_add_f64 v[24:25], v[10:11], v[22:23]
	v_add_f64 v[28:29], v[24:25], -v[10:11]
	v_add_f64 v[26:27], v[20:21], v[24:25]
	v_add_f64 v[22:23], v[22:23], -v[28:29]
	v_add_f64 v[28:29], v[24:25], -v[28:29]
	v_ldexp_f64 v[12:13], v[26:27], -2
	v_add_f64 v[28:29], v[10:11], -v[28:29]
	v_fract_f64_e32 v[18:19], v[12:13]
	v_cmp_neq_f64_e64 vcc, |v[12:13]|, s[84:85]
	v_add_f64 v[22:23], v[22:23], v[28:29]
	v_fma_f64 v[28:29], v[4:5], v[14:15], -v[10:11]
	v_add_f64 v[10:11], v[26:27], -v[20:21]
	v_ldexp_f64 v[18:19], v[18:19], 2
	v_fma_f64 v[14:15], v[2:3], v[14:15], -v[30:31]
	v_add_f64 v[32:33], v[30:31], v[28:29]
	v_add_f64 v[20:21], v[24:25], -v[10:11]
	v_cndmask_b32_e32 v13, 0, v19, vcc
	v_cndmask_b32_e32 v12, 0, v18, vcc
	v_add_f64 v[34:35], v[32:33], v[22:23]
	v_add_f64 v[24:25], v[34:35], -v[32:33]
	v_add_f64 v[10:11], v[20:21], v[34:35]
	v_add_f64 v[22:23], v[22:23], -v[24:25]
	v_add_f64 v[24:25], v[34:35], -v[24:25]
	v_add_f64 v[18:19], v[10:11], v[12:13]
	v_add_f64 v[20:21], v[10:11], -v[20:21]
	v_add_f64 v[24:25], v[32:33], -v[24:25]
	v_cmp_gt_f64_e32 vcc, 0, v[18:19]
	v_add_f64 v[20:21], v[34:35], -v[20:21]
	v_add_f64 v[22:23], v[22:23], v[24:25]
	v_add_f64 v[24:25], v[32:33], -v[30:31]
	v_cndmask_b32_e32 v56, 0, v54, vcc
	v_add_f64 v[12:13], v[12:13], v[55:56]
	v_add_f64 v[26:27], v[28:29], -v[24:25]
	v_add_f64 v[24:25], v[32:33], -v[24:25]
	v_add_f64 v[18:19], v[10:11], v[12:13]
	v_add_f64 v[24:25], v[30:31], -v[24:25]
	buffer_load_dword v29, off, s[0:3], 0 offset:108 ; 4-byte Folded Reload
	buffer_load_dword v30, off, s[0:3], 0 offset:112 ; 4-byte Folded Reload
	;; [unrolled: 1-line block ×4, first 2 shown]
	v_add_f64 v[24:25], v[26:27], v[24:25]
	v_add_f64 v[22:23], v[24:25], v[22:23]
	;; [unrolled: 1-line block ×4, first 2 shown]
	v_cvt_i32_f64_e32 v20, v[18:19]
	v_cvt_f64_i32_e32 v[18:19], v20
	v_add_f64 v[12:13], v[12:13], -v[18:19]
	v_add_f64 v[18:19], v[10:11], v[12:13]
	v_add_f64 v[12:13], v[18:19], -v[12:13]
	v_cmp_le_f64_e32 vcc, 0.5, v[18:19]
	v_add_f64 v[10:11], v[10:11], -v[12:13]
	v_mov_b32_e32 v12, 0x3ff00000
	v_cndmask_b32_e32 v56, 0, v12, vcc
	v_add_f64 v[12:13], v[18:19], -v[55:56]
	v_addc_co_u32_e64 v20, s[6:7], 0, v20, vcc
	v_mov_b32_e32 v56, 0
	v_add_f64 v[10:11], v[14:15], v[10:11]
	v_add_f64 v[14:15], v[12:13], v[10:11]
	v_add_f64 v[12:13], v[14:15], -v[12:13]
	v_add_f64 v[10:11], v[10:11], -v[12:13]
	v_mul_f64 v[12:13], v[14:15], s[86:87]
	v_fma_f64 v[18:19], v[14:15], s[86:87], -v[12:13]
	v_fma_f64 v[14:15], v[14:15], s[38:39], v[18:19]
	v_fma_f64 v[14:15], v[10:11], s[86:87], v[14:15]
	v_add_f64 v[10:11], v[12:13], v[14:15]
	v_add_f64 v[12:13], v[10:11], -v[12:13]
	v_add_f64 v[12:13], v[14:15], -v[12:13]
.LBB0_61:                               ;   in Loop: Header=BB0_34 Depth=1
	s_andn2_saveexec_b64 s[6:7], s[10:11]
	s_cbranch_execz .LBB0_63
; %bb.62:                               ;   in Loop: Header=BB0_34 Depth=1
	v_mul_f64 v[10:11], |v[0:1]|, s[40:41]
	s_mov_b32 s36, s86
	s_mov_b32 s10, s42
	;; [unrolled: 1-line block ×3, first 2 shown]
	v_rndne_f64_e32 v[14:15], v[10:11]
	v_fma_f64 v[10:11], v[14:15], s[36:37], |v[0:1]|
	v_mul_f64 v[12:13], v[14:15], s[42:43]
	v_fma_f64 v[22:23], v[14:15], s[42:43], v[10:11]
	v_add_f64 v[18:19], v[10:11], v[12:13]
	v_add_f64 v[20:21], v[10:11], -v[18:19]
	v_add_f64 v[18:19], v[18:19], -v[22:23]
	v_add_f64 v[10:11], v[20:21], v[12:13]
	v_fma_f64 v[12:13], v[14:15], s[10:11], v[12:13]
	v_cvt_i32_f64_e32 v20, v[14:15]
	v_add_f64 v[10:11], v[18:19], v[10:11]
	v_add_f64 v[10:11], v[10:11], -v[12:13]
	v_fma_f64 v[12:13], v[14:15], s[44:45], v[10:11]
	v_add_f64 v[10:11], v[22:23], v[12:13]
	v_add_f64 v[18:19], v[10:11], -v[22:23]
	v_add_f64 v[12:13], v[12:13], -v[18:19]
.LBB0_63:                               ;   in Loop: Header=BB0_34 Depth=1
	s_or_b64 exec, exec, s[6:7]
	buffer_load_dword v25, off, s[0:3], 0 offset:116 ; 4-byte Folded Reload
	buffer_load_dword v26, off, s[0:3], 0 offset:120 ; 4-byte Folded Reload
	v_mul_f64 v[18:19], v[10:11], v[10:11]
	s_mov_b32 s56, s94
	v_mul_f64 v[14:15], v[18:19], 0.5
	v_add_f64 v[21:22], -v[14:15], 1.0
	v_add_f64 v[23:24], -v[21:22], 1.0
	v_add_f64 v[14:15], v[23:24], -v[14:15]
	v_mul_f64 v[23:24], v[18:19], v[18:19]
	v_fma_f64 v[14:15], v[10:11], -v[12:13], v[14:15]
	s_waitcnt vmcnt(0)
	v_fma_f64 v[25:26], v[18:19], s[48:49], v[25:26]
	v_fma_f64 v[25:26], v[18:19], v[25:26], s[50:51]
	;; [unrolled: 1-line block ×6, first 2 shown]
	v_mul_f64 v[23:24], v[10:11], -v[18:19]
	v_mul_f64 v[25:26], v[12:13], 0.5
	v_add_f64 v[14:15], v[21:22], v[14:15]
	buffer_load_dword v21, off, s[0:3], 0 offset:124 ; 4-byte Folded Reload
	buffer_load_dword v22, off, s[0:3], 0 offset:128 ; 4-byte Folded Reload
	s_waitcnt vmcnt(0)
	v_fma_f64 v[21:22], v[18:19], s[60:61], v[21:22]
	v_fma_f64 v[21:22], v[18:19], v[21:22], s[62:63]
	;; [unrolled: 1-line block ×5, first 2 shown]
	v_fma_f64 v[12:13], v[18:19], v[21:22], -v[12:13]
	v_fma_f64 v[12:13], v[23:24], s[56:57], v[12:13]
	v_add_f64 v[10:11], v[10:11], -v[12:13]
	v_and_b32_e32 v12, 1, v20
	v_cmp_eq_u32_e32 vcc, 0, v12
	v_lshlrev_b32_e32 v12, 30, v20
	v_and_b32_e32 v12, 0x80000000, v12
	v_xor_b32_e32 v11, 0x80000000, v11
	v_cndmask_b32_e32 v10, v10, v14, vcc
	v_cndmask_b32_e32 v11, v11, v15, vcc
	v_cmp_class_f64_e64 vcc, v[0:1], s16
	v_xor_b32_e32 v11, v11, v12
                                        ; implicit-def: $vgpr14
                                        ; implicit-def: $vgpr12_vgpr13
	v_cndmask_b32_e32 v11, v41, v11, vcc
	v_cndmask_b32_e32 v10, 0, v10, vcc
	buffer_store_dword v10, off, s[0:3], 0 offset:48
	buffer_store_dword v11, off, s[0:3], 0 offset:52
                                        ; implicit-def: $vgpr10_vgpr11
	s_and_saveexec_b64 s[6:7], s[8:9]
	s_xor_b64 s[10:11], exec, s[6:7]
	s_cbranch_execz .LBB0_65
; %bb.64:                               ;   in Loop: Header=BB0_34 Depth=1
	v_cmp_ge_f64_e64 s[6:7], |v[0:1]|, s[82:83]
	v_cndmask_b32_e64 v11, v16, v9, s[6:7]
	v_cndmask_b32_e64 v10, v0, v8, s[6:7]
	v_mul_f64 v[14:15], v[6:7], v[10:11]
	v_mul_f64 v[12:13], v[4:5], v[10:11]
	v_fma_f64 v[18:19], v[6:7], v[10:11], -v[14:15]
	v_add_f64 v[20:21], v[12:13], v[18:19]
	v_add_f64 v[24:25], v[20:21], -v[12:13]
	v_add_f64 v[22:23], v[14:15], v[20:21]
	v_add_f64 v[18:19], v[18:19], -v[24:25]
	v_add_f64 v[24:25], v[20:21], -v[24:25]
	v_ldexp_f64 v[6:7], v[22:23], -2
	v_add_f64 v[24:25], v[12:13], -v[24:25]
	v_fma_f64 v[12:13], v[4:5], v[10:11], -v[12:13]
	v_add_f64 v[4:5], v[22:23], -v[14:15]
	v_fract_f64_e32 v[8:9], v[6:7]
	v_cmp_neq_f64_e64 s[6:7], |v[6:7]|, s[84:85]
	v_add_f64 v[18:19], v[18:19], v[24:25]
	v_mul_f64 v[24:25], v[2:3], v[10:11]
	v_add_f64 v[14:15], v[20:21], -v[4:5]
	v_ldexp_f64 v[8:9], v[8:9], 2
	v_add_f64 v[26:27], v[24:25], v[12:13]
	v_fma_f64 v[2:3], v[2:3], v[10:11], -v[24:25]
	v_cndmask_b32_e64 v7, 0, v9, s[6:7]
	v_cndmask_b32_e64 v6, 0, v8, s[6:7]
	v_add_f64 v[28:29], v[26:27], v[18:19]
	v_add_f64 v[4:5], v[14:15], v[28:29]
	v_add_f64 v[20:21], v[28:29], -v[26:27]
	v_add_f64 v[8:9], v[4:5], v[6:7]
	v_add_f64 v[18:19], v[18:19], -v[20:21]
	v_add_f64 v[20:21], v[28:29], -v[20:21]
	;; [unrolled: 1-line block ×3, first 2 shown]
	v_cmp_gt_f64_e64 s[6:7], 0, v[8:9]
	v_add_f64 v[20:21], v[26:27], -v[20:21]
	v_add_f64 v[14:15], v[28:29], -v[14:15]
	buffer_load_dword v29, off, s[0:3], 0 offset:108 ; 4-byte Folded Reload
	buffer_load_dword v30, off, s[0:3], 0 offset:112 ; 4-byte Folded Reload
	v_cndmask_b32_e64 v56, 0, v54, s[6:7]
	v_add_f64 v[6:7], v[6:7], v[55:56]
	v_add_f64 v[18:19], v[18:19], v[20:21]
	v_add_f64 v[20:21], v[26:27], -v[24:25]
	v_add_f64 v[8:9], v[4:5], v[6:7]
	v_add_f64 v[12:13], v[12:13], -v[20:21]
	v_add_f64 v[20:21], v[26:27], -v[20:21]
	v_cvt_i32_f64_e32 v10, v[8:9]
	v_add_f64 v[20:21], v[24:25], -v[20:21]
	v_cvt_f64_i32_e32 v[8:9], v10
	v_add_f64 v[6:7], v[6:7], -v[8:9]
	v_add_f64 v[12:13], v[12:13], v[20:21]
	v_add_f64 v[8:9], v[4:5], v[6:7]
	;; [unrolled: 1-line block ×3, first 2 shown]
	v_add_f64 v[6:7], v[8:9], -v[6:7]
	v_cmp_le_f64_e64 s[6:7], 0.5, v[8:9]
	v_add_f64 v[2:3], v[2:3], v[12:13]
	v_add_f64 v[4:5], v[4:5], -v[6:7]
	v_add_f64 v[2:3], v[14:15], v[2:3]
	v_addc_co_u32_e64 v14, s[8:9], 0, v10, s[6:7]
	v_add_f64 v[2:3], v[2:3], v[4:5]
	v_mov_b32_e32 v4, 0x3ff00000
	v_cndmask_b32_e64 v56, 0, v4, s[6:7]
	v_add_f64 v[4:5], v[8:9], -v[55:56]
	v_mov_b32_e32 v56, 0
	v_add_f64 v[6:7], v[4:5], v[2:3]
	v_add_f64 v[4:5], v[6:7], -v[4:5]
	v_add_f64 v[2:3], v[2:3], -v[4:5]
	v_mul_f64 v[4:5], v[6:7], s[86:87]
	v_fma_f64 v[8:9], v[6:7], s[86:87], -v[4:5]
	v_fma_f64 v[6:7], v[6:7], s[38:39], v[8:9]
	v_fma_f64 v[2:3], v[2:3], s[86:87], v[6:7]
	v_add_f64 v[10:11], v[4:5], v[2:3]
	v_add_f64 v[4:5], v[10:11], -v[4:5]
	v_add_f64 v[12:13], v[2:3], -v[4:5]
.LBB0_65:                               ;   in Loop: Header=BB0_34 Depth=1
	s_andn2_saveexec_b64 s[6:7], s[10:11]
	s_cbranch_execz .LBB0_67
; %bb.66:                               ;   in Loop: Header=BB0_34 Depth=1
	v_mul_f64 v[2:3], |v[0:1]|, s[40:41]
	s_mov_b32 s36, s86
	s_mov_b32 s8, s42
	;; [unrolled: 1-line block ×3, first 2 shown]
	v_rndne_f64_e32 v[2:3], v[2:3]
	v_fma_f64 v[4:5], v[2:3], s[36:37], |v[0:1]|
	v_mul_f64 v[6:7], v[2:3], s[42:43]
	v_cvt_i32_f64_e32 v14, v[2:3]
	v_add_f64 v[8:9], v[4:5], v[6:7]
	v_add_f64 v[10:11], v[4:5], -v[8:9]
	v_fma_f64 v[4:5], v[2:3], s[42:43], v[4:5]
	v_add_f64 v[10:11], v[10:11], v[6:7]
	v_add_f64 v[8:9], v[8:9], -v[4:5]
	v_fma_f64 v[6:7], v[2:3], s[8:9], v[6:7]
	;; [unrolled: 3-line block ×3, first 2 shown]
	v_add_f64 v[10:11], v[4:5], v[6:7]
	v_add_f64 v[4:5], v[10:11], -v[4:5]
	v_add_f64 v[12:13], v[6:7], -v[4:5]
.LBB0_67:                               ;   in Loop: Header=BB0_34 Depth=1
	s_or_b64 exec, exec, s[6:7]
	buffer_load_dword v15, off, s[0:3], 0 offset:116 ; 4-byte Folded Reload
	buffer_load_dword v16, off, s[0:3], 0 offset:120 ; 4-byte Folded Reload
	v_mul_f64 v[2:3], v[10:11], v[10:11]
	s_mov_b32 s56, s94
	v_and_b32_e32 v0, 1, v14
	v_cmp_eq_u32_e64 s[6:7], 0, v0
	v_mul_f64 v[4:5], v[2:3], 0.5
	v_add_f64 v[6:7], -v[4:5], 1.0
	v_add_f64 v[8:9], -v[6:7], 1.0
	v_add_f64 v[4:5], v[8:9], -v[4:5]
	v_mul_f64 v[8:9], v[2:3], v[2:3]
	v_fma_f64 v[4:5], v[10:11], -v[12:13], v[4:5]
	s_waitcnt vmcnt(0)
	v_fma_f64 v[15:16], v[2:3], s[48:49], v[15:16]
	v_fma_f64 v[15:16], v[2:3], v[15:16], s[50:51]
	;; [unrolled: 1-line block ×6, first 2 shown]
	v_mul_f64 v[8:9], v[10:11], -v[2:3]
	v_mul_f64 v[15:16], v[12:13], 0.5
	v_add_f64 v[4:5], v[6:7], v[4:5]
	buffer_load_dword v6, off, s[0:3], 0 offset:124 ; 4-byte Folded Reload
	buffer_load_dword v7, off, s[0:3], 0 offset:128 ; 4-byte Folded Reload
	s_waitcnt vmcnt(0)
	v_fma_f64 v[6:7], v[2:3], s[60:61], v[6:7]
	v_fma_f64 v[6:7], v[2:3], v[6:7], s[62:63]
	;; [unrolled: 1-line block ×5, first 2 shown]
	v_fma_f64 v[2:3], v[2:3], v[6:7], -v[12:13]
	v_fma_f64 v[2:3], v[8:9], s[56:57], v[2:3]
	v_add_f64 v[2:3], v[10:11], -v[2:3]
	v_cndmask_b32_e64 v0, v4, v2, s[6:7]
	v_cndmask_b32_e64 v2, v5, v3, s[6:7]
	v_lshlrev_b32_e32 v3, 30, v14
	v_xor_b32_e32 v1, v3, v1
	v_and_b32_e32 v1, 0x80000000, v1
	v_xor_b32_e32 v1, v2, v1
	v_mov_b32_e32 v2, 0xfff80000
	v_cndmask_b32_e32 v0, 0, v0, vcc
	v_cndmask_b32_e64 v1, v2, -v1, vcc
	buffer_store_dword v0, off, s[0:3], 0 offset:56
	buffer_store_dword v1, off, s[0:3], 0 offset:60
	v_mad_u64_u32 v[0:1], s[6:7], v44, s14, v[17:18]
	v_cndmask_b32_e64 v1, 0, 1, s[4:5]
	v_sub_u32_e32 v0, v0, v1
	v_ashrrev_i32_e32 v1, 31, v0
	v_lshlrev_b64 v[0:1], 5, v[0:1]
	v_add_co_u32_e32 v4, vcc, s22, v0
	v_mov_b32_e32 v0, s23
	v_addc_co_u32_e32 v5, vcc, v0, v1, vcc
	global_load_dwordx4 v[0:3], v[4:5], off offset:16
	s_nop 0
	global_load_dwordx4 v[4:7], v[4:5], off
	s_waitcnt vmcnt(1)
	v_mul_f64 v[0:1], v[61:62], v[0:1]
	s_waitcnt vmcnt(0)
	v_mul_f64 v[47:48], v[61:62], v[4:5]
	v_mul_f64 v[49:50], v[61:62], v[6:7]
	v_cmp_lt_i32_e32 vcc, v2, v3
	s_and_saveexec_b64 s[6:7], vcc
	s_cbranch_execz .LBB0_71
; %bb.68:                               ;   in Loop: Header=BB0_34 Depth=1
	v_mad_u64_u32 v[4:5], s[8:9], v44, s13, v[2:3]
	v_mov_b32_e32 v5, s20
	v_mov_b32_e32 v6, s21
	v_mad_i64_i32 v[18:19], s[8:9], v4, s17, v[5:6]
	v_mov_b32_e32 v38, v30
	s_mov_b64 s[8:9], 0
	v_mov_b32_e32 v37, v29
.LBB0_69:                               ;   Parent Loop BB0_34 Depth=1
                                        ; =>  This Inner Loop Header: Depth=2
	global_load_dwordx4 v[4:7], v[18:19], off offset:48
	global_load_dwordx4 v[8:11], v[18:19], off offset:32
	;; [unrolled: 1-line block ×3, first 2 shown]
	global_load_dwordx4 v[25:28], v[18:19], off
	global_load_sshort v16, v[18:19], off offset:64
	v_add_u32_e32 v2, 1, v2
	s_waitcnt vmcnt(1)
	v_add_f64 v[20:21], v[25:26], -v[31:32]
	v_mul_f64 v[22:23], v[27:28], v[27:28]
	s_waitcnt vmcnt(0)
	v_lshl_add_u32 v16, v16, 4, v56
	v_fma_f64 v[25:26], v[20:21], 0, v[27:28]
	v_fma_f64 v[23:24], v[20:21], v[20:21], v[22:23]
	;; [unrolled: 1-line block ×3, first 2 shown]
	v_div_scale_f64 v[29:30], s[10:11], v[23:24], v[23:24], v[25:26]
	v_div_scale_f64 v[27:28], s[10:11], v[23:24], v[23:24], v[20:21]
	v_rcp_f64_e32 v[31:32], v[29:30]
	v_fma_f64 v[33:34], -v[29:30], v[31:32], 1.0
	v_fma_f64 v[31:32], v[31:32], v[33:34], v[31:32]
	v_fma_f64 v[33:34], -v[29:30], v[31:32], 1.0
	v_fma_f64 v[31:32], v[31:32], v[33:34], v[31:32]
	v_div_scale_f64 v[33:34], vcc, v[25:26], v[23:24], v[25:26]
	v_mul_f64 v[35:36], v[33:34], v[31:32]
	v_fma_f64 v[29:30], -v[29:30], v[35:36], v[33:34]
	s_nop 1
	v_div_fmas_f64 v[29:30], v[29:30], v[31:32], v[35:36]
	v_div_fixup_f64 v[25:26], v[29:30], v[23:24], v[25:26]
	v_rcp_f64_e32 v[29:30], v[27:28]
	v_fma_f64 v[31:32], -v[27:28], v[29:30], 1.0
	v_fma_f64 v[29:30], v[29:30], v[31:32], v[29:30]
	v_fma_f64 v[31:32], -v[27:28], v[29:30], 1.0
	v_fma_f64 v[29:30], v[29:30], v[31:32], v[29:30]
	v_div_scale_f64 v[31:32], vcc, v[20:21], v[23:24], v[20:21]
	v_mul_f64 v[33:34], v[31:32], v[29:30]
	v_fma_f64 v[27:28], -v[27:28], v[33:34], v[31:32]
	s_nop 1
	v_div_fmas_f64 v[27:28], v[27:28], v[29:30], v[33:34]
	v_div_fixup_f64 v[20:21], v[27:28], v[23:24], v[20:21]
	v_mul_f64 v[22:23], v[20:21], 0
	v_fma_f64 v[22:23], v[61:62], v[25:26], v[22:23]
	v_mul_f64 v[25:26], v[25:26], s[88:89]
	v_div_scale_f64 v[27:28], s[10:11], v[37:38], v[37:38], v[22:23]
	v_fma_f64 v[20:21], v[61:62], v[20:21], v[25:26]
	v_div_scale_f64 v[25:26], s[10:11], v[37:38], v[37:38], v[20:21]
	v_rcp_f64_e32 v[29:30], v[27:28]
	v_fma_f64 v[31:32], -v[27:28], v[29:30], 1.0
	v_fma_f64 v[29:30], v[29:30], v[31:32], v[29:30]
	v_fma_f64 v[31:32], -v[27:28], v[29:30], 1.0
	v_fma_f64 v[29:30], v[29:30], v[31:32], v[29:30]
	v_div_scale_f64 v[31:32], vcc, v[22:23], v[37:38], v[22:23]
	v_mul_f64 v[33:34], v[31:32], v[29:30]
	v_fma_f64 v[27:28], -v[27:28], v[33:34], v[31:32]
	s_nop 1
	v_div_fmas_f64 v[27:28], v[27:28], v[29:30], v[33:34]
	v_div_fixup_f64 v[23:24], v[27:28], v[37:38], v[22:23]
	v_rcp_f64_e32 v[27:28], v[25:26]
	v_fma_f64 v[29:30], -v[25:26], v[27:28], 1.0
	v_fma_f64 v[27:28], v[27:28], v[29:30], v[27:28]
	v_fma_f64 v[29:30], -v[25:26], v[27:28], 1.0
	v_fma_f64 v[27:28], v[27:28], v[29:30], v[27:28]
	v_div_scale_f64 v[29:30], vcc, v[20:21], v[37:38], v[20:21]
	v_mul_f64 v[31:32], v[29:30], v[27:28]
	v_fma_f64 v[25:26], -v[25:26], v[31:32], v[29:30]
	s_nop 1
	v_div_fmas_f64 v[25:26], v[25:26], v[27:28], v[31:32]
	buffer_load_dword v31, off, s[0:3], 0 offset:64 ; 4-byte Folded Reload
	buffer_load_dword v32, off, s[0:3], 0 offset:68 ; 4-byte Folded Reload
	v_add_co_u32_e32 v18, vcc, 0x48, v18
	v_addc_co_u32_e32 v19, vcc, 0, v19, vcc
	v_cmp_ge_i32_e32 vcc, v2, v3
	s_or_b64 s[8:9], vcc, s[8:9]
	v_div_fixup_f64 v[25:26], v[25:26], v[37:38], v[20:21]
	buffer_load_dword v20, v16, s[0:3], 0 offen
	buffer_load_dword v21, v16, s[0:3], 0 offen offset:4
	buffer_load_dword v27, v16, s[0:3], 0 offen offset:8
	;; [unrolled: 1-line block ×3, first 2 shown]
	v_mul_f64 v[10:11], v[10:11], v[25:26]
	v_mul_f64 v[6:7], v[6:7], v[25:26]
	v_fma_f64 v[8:9], v[8:9], v[23:24], -v[10:11]
	v_fma_f64 v[4:5], v[4:5], v[23:24], -v[6:7]
	v_add_f64 v[49:50], v[49:50], v[8:9]
	v_add_f64 v[0:1], v[0:1], v[4:5]
	s_waitcnt vmcnt(0)
	v_mul_f64 v[29:30], v[25:26], v[27:28]
	v_mul_f64 v[27:28], v[23:24], v[27:28]
	v_fma_f64 v[29:30], v[23:24], v[20:21], -v[29:30]
	v_fma_f64 v[20:21], v[25:26], v[20:21], v[27:28]
	v_mul_f64 v[14:15], v[14:15], v[20:21]
	v_fma_f64 v[12:13], v[12:13], v[29:30], -v[14:15]
	v_add_f64 v[47:48], v[47:48], v[12:13]
	s_andn2_b64 exec, exec, s[8:9]
	s_cbranch_execnz .LBB0_69
; %bb.70:                               ;   in Loop: Header=BB0_34 Depth=1
	s_or_b64 exec, exec, s[8:9]
	v_mov_b32_e32 v29, v37
	v_mov_b32_e32 v30, v38
.LBB0_71:                               ;   in Loop: Header=BB0_34 Depth=1
	s_or_b64 exec, exec, s[6:7]
	v_add_f64 v[2:3], v[47:48], -v[49:50]
	s_mov_b64 s[6:7], 0
.LBB0_72:                               ;   in Loop: Header=BB0_34 Depth=1
	s_and_b64 vcc, exec, s[6:7]
	s_cbranch_vccz .LBB0_33
; %bb.73:                               ;   in Loop: Header=BB0_34 Depth=1
	global_load_dwordx2 v[0:1], v[45:46], off
                                        ; implicit-def: $vgpr20
                                        ; implicit-def: $vgpr10_vgpr11
                                        ; implicit-def: $vgpr12_vgpr13
	s_waitcnt vmcnt(0)
	v_mul_f64 v[0:1], v[31:32], v[0:1]
	v_add_f64 v[0:1], v[0:1], v[0:1]
	v_trig_preop_f64 v[6:7], |v[0:1]|, 0
	v_trig_preop_f64 v[4:5], |v[0:1]|, 1
	;; [unrolled: 1-line block ×3, first 2 shown]
	v_cmp_nlt_f64_e64 s[8:9], |v[0:1]|, s[80:81]
	v_ldexp_f64 v[8:9], |v[0:1]|, s12
	v_and_b32_e32 v16, 0x7fffffff, v1
	s_and_saveexec_b64 s[6:7], s[8:9]
	s_xor_b64 s[10:11], exec, s[6:7]
	s_cbranch_execz .LBB0_75
; %bb.74:                               ;   in Loop: Header=BB0_34 Depth=1
	v_cmp_ge_f64_e64 vcc, |v[0:1]|, s[82:83]
	v_cndmask_b32_e32 v15, v16, v9, vcc
	v_cndmask_b32_e32 v14, v0, v8, vcc
	v_mul_f64 v[20:21], v[6:7], v[14:15]
	v_mul_f64 v[10:11], v[4:5], v[14:15]
	;; [unrolled: 1-line block ×3, first 2 shown]
	v_fma_f64 v[23:24], v[6:7], v[14:15], -v[20:21]
	v_add_f64 v[25:26], v[10:11], v[23:24]
	v_add_f64 v[29:30], v[25:26], -v[10:11]
	v_add_f64 v[27:28], v[20:21], v[25:26]
	v_add_f64 v[23:24], v[23:24], -v[29:30]
	v_add_f64 v[29:30], v[25:26], -v[29:30]
	v_ldexp_f64 v[12:13], v[27:28], -2
	v_add_f64 v[29:30], v[10:11], -v[29:30]
	v_fract_f64_e32 v[18:19], v[12:13]
	v_cmp_neq_f64_e64 vcc, |v[12:13]|, s[84:85]
	v_add_f64 v[23:24], v[23:24], v[29:30]
	v_fma_f64 v[29:30], v[4:5], v[14:15], -v[10:11]
	v_add_f64 v[10:11], v[27:28], -v[20:21]
	v_ldexp_f64 v[18:19], v[18:19], 2
	v_fma_f64 v[14:15], v[2:3], v[14:15], -v[31:32]
	v_add_f64 v[33:34], v[31:32], v[29:30]
	v_add_f64 v[20:21], v[25:26], -v[10:11]
	v_cndmask_b32_e32 v13, 0, v19, vcc
	v_cndmask_b32_e32 v12, 0, v18, vcc
	v_add_f64 v[35:36], v[33:34], v[23:24]
	v_add_f64 v[25:26], v[35:36], -v[33:34]
	v_add_f64 v[10:11], v[20:21], v[35:36]
	v_add_f64 v[23:24], v[23:24], -v[25:26]
	v_add_f64 v[25:26], v[35:36], -v[25:26]
	v_add_f64 v[18:19], v[10:11], v[12:13]
	v_add_f64 v[20:21], v[10:11], -v[20:21]
	v_add_f64 v[25:26], v[33:34], -v[25:26]
	v_cmp_gt_f64_e32 vcc, 0, v[18:19]
	v_add_f64 v[20:21], v[35:36], -v[20:21]
	v_add_f64 v[23:24], v[23:24], v[25:26]
	v_add_f64 v[25:26], v[33:34], -v[31:32]
	v_cndmask_b32_e32 v56, 0, v54, vcc
	v_add_f64 v[12:13], v[12:13], v[55:56]
	v_add_f64 v[27:28], v[29:30], -v[25:26]
	v_add_f64 v[25:26], v[33:34], -v[25:26]
	v_add_f64 v[18:19], v[10:11], v[12:13]
	buffer_load_dword v29, off, s[0:3], 0 offset:108 ; 4-byte Folded Reload
	buffer_load_dword v30, off, s[0:3], 0 offset:112 ; 4-byte Folded Reload
	v_add_f64 v[25:26], v[31:32], -v[25:26]
	buffer_load_dword v31, off, s[0:3], 0 offset:64 ; 4-byte Folded Reload
	buffer_load_dword v32, off, s[0:3], 0 offset:68 ; 4-byte Folded Reload
	v_add_f64 v[25:26], v[27:28], v[25:26]
	v_add_f64 v[23:24], v[25:26], v[23:24]
	;; [unrolled: 1-line block ×4, first 2 shown]
	v_cvt_i32_f64_e32 v20, v[18:19]
	v_cvt_f64_i32_e32 v[18:19], v20
	v_add_f64 v[12:13], v[12:13], -v[18:19]
	v_add_f64 v[18:19], v[10:11], v[12:13]
	v_add_f64 v[12:13], v[18:19], -v[12:13]
	v_cmp_le_f64_e32 vcc, 0.5, v[18:19]
	v_add_f64 v[10:11], v[10:11], -v[12:13]
	v_mov_b32_e32 v12, 0x3ff00000
	v_cndmask_b32_e32 v56, 0, v12, vcc
	v_add_f64 v[12:13], v[18:19], -v[55:56]
	v_addc_co_u32_e64 v20, s[6:7], 0, v20, vcc
	v_mov_b32_e32 v56, 0
	v_add_f64 v[10:11], v[14:15], v[10:11]
	v_add_f64 v[14:15], v[12:13], v[10:11]
	v_add_f64 v[12:13], v[14:15], -v[12:13]
	v_add_f64 v[10:11], v[10:11], -v[12:13]
	v_mul_f64 v[12:13], v[14:15], s[86:87]
	v_fma_f64 v[18:19], v[14:15], s[86:87], -v[12:13]
	v_fma_f64 v[14:15], v[14:15], s[38:39], v[18:19]
	v_fma_f64 v[14:15], v[10:11], s[86:87], v[14:15]
	v_add_f64 v[10:11], v[12:13], v[14:15]
	v_add_f64 v[12:13], v[10:11], -v[12:13]
	v_add_f64 v[12:13], v[14:15], -v[12:13]
.LBB0_75:                               ;   in Loop: Header=BB0_34 Depth=1
	s_andn2_saveexec_b64 s[6:7], s[10:11]
	s_cbranch_execz .LBB0_77
; %bb.76:                               ;   in Loop: Header=BB0_34 Depth=1
	v_mul_f64 v[10:11], |v[0:1]|, s[40:41]
	s_mov_b32 s36, s86
	s_mov_b32 s10, s42
	;; [unrolled: 1-line block ×3, first 2 shown]
	v_rndne_f64_e32 v[14:15], v[10:11]
	v_fma_f64 v[10:11], v[14:15], s[36:37], |v[0:1]|
	v_mul_f64 v[12:13], v[14:15], s[42:43]
	v_fma_f64 v[23:24], v[14:15], s[42:43], v[10:11]
	v_add_f64 v[18:19], v[10:11], v[12:13]
	v_add_f64 v[20:21], v[10:11], -v[18:19]
	v_add_f64 v[18:19], v[18:19], -v[23:24]
	v_add_f64 v[10:11], v[20:21], v[12:13]
	v_fma_f64 v[12:13], v[14:15], s[10:11], v[12:13]
	v_cvt_i32_f64_e32 v20, v[14:15]
	v_add_f64 v[10:11], v[18:19], v[10:11]
	v_add_f64 v[10:11], v[10:11], -v[12:13]
	v_fma_f64 v[12:13], v[14:15], s[44:45], v[10:11]
	v_add_f64 v[10:11], v[23:24], v[12:13]
	v_add_f64 v[18:19], v[10:11], -v[23:24]
	v_add_f64 v[12:13], v[12:13], -v[18:19]
.LBB0_77:                               ;   in Loop: Header=BB0_34 Depth=1
	s_or_b64 exec, exec, s[6:7]
	buffer_load_dword v21, off, s[0:3], 0 offset:116 ; 4-byte Folded Reload
	buffer_load_dword v22, off, s[0:3], 0 offset:120 ; 4-byte Folded Reload
	v_mul_f64 v[18:19], v[10:11], v[10:11]
	s_mov_b32 s56, s94
	v_mul_f64 v[14:15], v[18:19], 0.5
	v_add_f64 v[23:24], -v[14:15], 1.0
	v_add_f64 v[25:26], -v[23:24], 1.0
	v_add_f64 v[14:15], v[25:26], -v[14:15]
	v_mul_f64 v[25:26], v[18:19], v[18:19]
	v_fma_f64 v[14:15], v[10:11], -v[12:13], v[14:15]
	s_waitcnt vmcnt(0)
	v_fma_f64 v[27:28], v[18:19], s[48:49], v[21:22]
	buffer_load_dword v21, off, s[0:3], 0 offset:124 ; 4-byte Folded Reload
	buffer_load_dword v22, off, s[0:3], 0 offset:128 ; 4-byte Folded Reload
	v_fma_f64 v[27:28], v[18:19], v[27:28], s[50:51]
	v_fma_f64 v[27:28], v[18:19], v[27:28], s[52:53]
	v_fma_f64 v[27:28], v[18:19], v[27:28], s[54:55]
	v_fma_f64 v[27:28], v[18:19], v[27:28], s[94:95]
	v_fma_f64 v[14:15], v[25:26], v[27:28], v[14:15]
	v_mul_f64 v[25:26], v[10:11], -v[18:19]
	v_mul_f64 v[27:28], v[12:13], 0.5
	v_add_f64 v[14:15], v[23:24], v[14:15]
	s_waitcnt vmcnt(0)
	v_fma_f64 v[23:24], v[18:19], s[60:61], v[21:22]
	v_fma_f64 v[23:24], v[18:19], v[23:24], s[62:63]
	;; [unrolled: 1-line block ×5, first 2 shown]
	v_fma_f64 v[12:13], v[18:19], v[23:24], -v[12:13]
	v_fma_f64 v[12:13], v[25:26], s[56:57], v[12:13]
	v_add_f64 v[10:11], v[10:11], -v[12:13]
	v_and_b32_e32 v12, 1, v20
	v_cmp_eq_u32_e32 vcc, 0, v12
	v_lshlrev_b32_e32 v12, 30, v20
	v_and_b32_e32 v12, 0x80000000, v12
	v_xor_b32_e32 v11, 0x80000000, v11
	v_cndmask_b32_e32 v10, v10, v14, vcc
	v_cndmask_b32_e32 v11, v11, v15, vcc
	v_cmp_class_f64_e64 vcc, v[0:1], s16
	v_xor_b32_e32 v11, v11, v12
                                        ; implicit-def: $vgpr14
                                        ; implicit-def: $vgpr12_vgpr13
	v_cndmask_b32_e32 v11, v41, v11, vcc
	v_cndmask_b32_e32 v10, 0, v10, vcc
	buffer_store_dword v10, off, s[0:3], 0
	buffer_store_dword v11, off, s[0:3], 0 offset:4
                                        ; implicit-def: $vgpr10_vgpr11
	s_and_saveexec_b64 s[6:7], s[8:9]
	s_xor_b64 s[10:11], exec, s[6:7]
	s_cbranch_execz .LBB0_79
; %bb.78:                               ;   in Loop: Header=BB0_34 Depth=1
	v_cmp_ge_f64_e64 s[6:7], |v[0:1]|, s[82:83]
	v_cndmask_b32_e64 v11, v16, v9, s[6:7]
	v_cndmask_b32_e64 v10, v0, v8, s[6:7]
	v_mul_f64 v[14:15], v[6:7], v[10:11]
	v_mul_f64 v[12:13], v[4:5], v[10:11]
	v_fma_f64 v[18:19], v[6:7], v[10:11], -v[14:15]
	v_add_f64 v[20:21], v[12:13], v[18:19]
	v_add_f64 v[25:26], v[20:21], -v[12:13]
	v_add_f64 v[23:24], v[14:15], v[20:21]
	v_add_f64 v[18:19], v[18:19], -v[25:26]
	v_add_f64 v[25:26], v[20:21], -v[25:26]
	v_ldexp_f64 v[6:7], v[23:24], -2
	v_add_f64 v[25:26], v[12:13], -v[25:26]
	v_fma_f64 v[12:13], v[4:5], v[10:11], -v[12:13]
	v_add_f64 v[4:5], v[23:24], -v[14:15]
	v_fract_f64_e32 v[8:9], v[6:7]
	v_cmp_neq_f64_e64 s[6:7], |v[6:7]|, s[84:85]
	v_add_f64 v[18:19], v[18:19], v[25:26]
	v_mul_f64 v[25:26], v[2:3], v[10:11]
	v_add_f64 v[14:15], v[20:21], -v[4:5]
	v_ldexp_f64 v[8:9], v[8:9], 2
	v_add_f64 v[27:28], v[25:26], v[12:13]
	v_fma_f64 v[2:3], v[2:3], v[10:11], -v[25:26]
	v_cndmask_b32_e64 v7, 0, v9, s[6:7]
	v_cndmask_b32_e64 v6, 0, v8, s[6:7]
	v_add_f64 v[29:30], v[27:28], v[18:19]
	v_add_f64 v[4:5], v[14:15], v[29:30]
	v_add_f64 v[20:21], v[29:30], -v[27:28]
	v_add_f64 v[8:9], v[4:5], v[6:7]
	v_add_f64 v[18:19], v[18:19], -v[20:21]
	v_add_f64 v[20:21], v[29:30], -v[20:21]
	;; [unrolled: 1-line block ×3, first 2 shown]
	v_cmp_gt_f64_e64 s[6:7], 0, v[8:9]
	v_add_f64 v[20:21], v[27:28], -v[20:21]
	v_add_f64 v[14:15], v[29:30], -v[14:15]
	buffer_load_dword v29, off, s[0:3], 0 offset:108 ; 4-byte Folded Reload
	buffer_load_dword v30, off, s[0:3], 0 offset:112 ; 4-byte Folded Reload
	v_cndmask_b32_e64 v56, 0, v54, s[6:7]
	v_add_f64 v[6:7], v[6:7], v[55:56]
	v_add_f64 v[18:19], v[18:19], v[20:21]
	v_add_f64 v[20:21], v[27:28], -v[25:26]
	v_add_f64 v[8:9], v[4:5], v[6:7]
	v_add_f64 v[12:13], v[12:13], -v[20:21]
	v_add_f64 v[20:21], v[27:28], -v[20:21]
	v_cvt_i32_f64_e32 v10, v[8:9]
	v_add_f64 v[20:21], v[25:26], -v[20:21]
	v_cvt_f64_i32_e32 v[8:9], v10
	v_add_f64 v[6:7], v[6:7], -v[8:9]
	v_add_f64 v[12:13], v[12:13], v[20:21]
	v_add_f64 v[8:9], v[4:5], v[6:7]
	;; [unrolled: 1-line block ×3, first 2 shown]
	v_add_f64 v[6:7], v[8:9], -v[6:7]
	v_cmp_le_f64_e64 s[6:7], 0.5, v[8:9]
	v_add_f64 v[2:3], v[2:3], v[12:13]
	v_add_f64 v[4:5], v[4:5], -v[6:7]
	v_add_f64 v[2:3], v[14:15], v[2:3]
	v_addc_co_u32_e64 v14, s[8:9], 0, v10, s[6:7]
	v_add_f64 v[2:3], v[2:3], v[4:5]
	v_mov_b32_e32 v4, 0x3ff00000
	v_cndmask_b32_e64 v56, 0, v4, s[6:7]
	v_add_f64 v[4:5], v[8:9], -v[55:56]
	v_mov_b32_e32 v56, 0
	v_add_f64 v[6:7], v[4:5], v[2:3]
	v_add_f64 v[4:5], v[6:7], -v[4:5]
	v_add_f64 v[2:3], v[2:3], -v[4:5]
	v_mul_f64 v[4:5], v[6:7], s[86:87]
	v_fma_f64 v[8:9], v[6:7], s[86:87], -v[4:5]
	v_fma_f64 v[6:7], v[6:7], s[38:39], v[8:9]
	v_fma_f64 v[2:3], v[2:3], s[86:87], v[6:7]
	v_add_f64 v[10:11], v[4:5], v[2:3]
	v_add_f64 v[4:5], v[10:11], -v[4:5]
	v_add_f64 v[12:13], v[2:3], -v[4:5]
.LBB0_79:                               ;   in Loop: Header=BB0_34 Depth=1
	s_andn2_saveexec_b64 s[6:7], s[10:11]
	s_cbranch_execz .LBB0_81
; %bb.80:                               ;   in Loop: Header=BB0_34 Depth=1
	v_mul_f64 v[2:3], |v[0:1]|, s[40:41]
	s_mov_b32 s36, s86
	s_mov_b32 s8, s42
	;; [unrolled: 1-line block ×3, first 2 shown]
	v_rndne_f64_e32 v[2:3], v[2:3]
	v_fma_f64 v[4:5], v[2:3], s[36:37], |v[0:1]|
	v_mul_f64 v[6:7], v[2:3], s[42:43]
	v_cvt_i32_f64_e32 v14, v[2:3]
	v_add_f64 v[8:9], v[4:5], v[6:7]
	v_add_f64 v[10:11], v[4:5], -v[8:9]
	v_fma_f64 v[4:5], v[2:3], s[42:43], v[4:5]
	v_add_f64 v[10:11], v[10:11], v[6:7]
	v_add_f64 v[8:9], v[8:9], -v[4:5]
	v_fma_f64 v[6:7], v[2:3], s[8:9], v[6:7]
	;; [unrolled: 3-line block ×3, first 2 shown]
	v_add_f64 v[10:11], v[4:5], v[6:7]
	v_add_f64 v[4:5], v[10:11], -v[4:5]
	v_add_f64 v[12:13], v[6:7], -v[4:5]
.LBB0_81:                               ;   in Loop: Header=BB0_34 Depth=1
	s_or_b64 exec, exec, s[6:7]
	buffer_load_dword v15, off, s[0:3], 0 offset:116 ; 4-byte Folded Reload
	buffer_load_dword v16, off, s[0:3], 0 offset:120 ; 4-byte Folded Reload
	v_mul_f64 v[2:3], v[10:11], v[10:11]
	s_mov_b32 s56, s94
	v_and_b32_e32 v0, 1, v14
	v_cmp_eq_u32_e64 s[6:7], 0, v0
                                        ; implicit-def: $vgpr20
	v_mul_f64 v[4:5], v[2:3], 0.5
	v_add_f64 v[6:7], -v[4:5], 1.0
	v_add_f64 v[8:9], -v[6:7], 1.0
	v_add_f64 v[4:5], v[8:9], -v[4:5]
	v_mul_f64 v[8:9], v[2:3], v[2:3]
	v_fma_f64 v[4:5], v[10:11], -v[12:13], v[4:5]
	s_waitcnt vmcnt(0)
	v_fma_f64 v[15:16], v[2:3], s[48:49], v[15:16]
	v_fma_f64 v[15:16], v[2:3], v[15:16], s[50:51]
	;; [unrolled: 1-line block ×6, first 2 shown]
	v_mul_f64 v[8:9], v[10:11], -v[2:3]
	v_mul_f64 v[15:16], v[12:13], 0.5
	v_add_f64 v[4:5], v[6:7], v[4:5]
	buffer_load_dword v6, off, s[0:3], 0 offset:124 ; 4-byte Folded Reload
	buffer_load_dword v7, off, s[0:3], 0 offset:128 ; 4-byte Folded Reload
	s_waitcnt vmcnt(0)
	v_fma_f64 v[6:7], v[2:3], s[60:61], v[6:7]
	v_fma_f64 v[6:7], v[2:3], v[6:7], s[62:63]
	;; [unrolled: 1-line block ×5, first 2 shown]
	v_fma_f64 v[2:3], v[2:3], v[6:7], -v[12:13]
	v_fma_f64 v[2:3], v[8:9], s[56:57], v[2:3]
	v_add_f64 v[2:3], v[10:11], -v[2:3]
	v_cndmask_b32_e64 v0, v4, v2, s[6:7]
	v_cndmask_b32_e64 v2, v5, v3, s[6:7]
	v_lshlrev_b32_e32 v3, 30, v14
	v_xor_b32_e32 v1, v3, v1
	v_and_b32_e32 v1, 0x80000000, v1
	v_xor_b32_e32 v1, v2, v1
	v_cndmask_b32_e32 v0, 0, v0, vcc
	v_mov_b32_e32 v2, 0xfff80000
	v_cndmask_b32_e64 v1, v2, -v1, vcc
	buffer_store_dword v0, off, s[0:3], 0 offset:8
	buffer_store_dword v1, off, s[0:3], 0 offset:12
	global_load_dwordx2 v[0:1], v[45:46], off offset:8
	s_waitcnt vmcnt(0)
	v_mul_f64 v[2:3], v[31:32], v[0:1]
	v_and_b32_e32 v5, 0x7fffffff, v3
	v_mov_b32_e32 v4, v2
	v_div_scale_f64 v[6:7], s[8:9], v[4:5], v[4:5], 1.0
	v_cmp_gt_f64_e64 s[6:7], |v[2:3]|, 1.0
	s_mov_b32 s8, 0xb5e68a13
	s_mov_b32 s9, 0x3eeba404
	v_rcp_f64_e32 v[8:9], v[6:7]
	v_fma_f64 v[10:11], -v[6:7], v[8:9], 1.0
	v_fma_f64 v[8:9], v[8:9], v[10:11], v[8:9]
	v_fma_f64 v[10:11], -v[6:7], v[8:9], 1.0
	v_fma_f64 v[8:9], v[8:9], v[10:11], v[8:9]
	v_div_scale_f64 v[10:11], vcc, 1.0, v[4:5], 1.0
	v_mul_f64 v[12:13], v[10:11], v[8:9]
	v_fma_f64 v[6:7], -v[6:7], v[12:13], v[10:11]
                                        ; implicit-def: $vgpr10_vgpr11
	s_nop 1
	v_div_fmas_f64 v[6:7], v[6:7], v[8:9], v[12:13]
	buffer_load_dword v8, off, s[0:3], 0 offset:164 ; 4-byte Folded Reload
	buffer_load_dword v9, off, s[0:3], 0 offset:168 ; 4-byte Folded Reload
                                        ; implicit-def: $vgpr12_vgpr13
	v_div_fixup_f64 v[6:7], v[6:7], |v[2:3]|, 1.0
	v_cndmask_b32_e64 v5, v5, v7, s[6:7]
	v_cndmask_b32_e64 v4, v2, v6, s[6:7]
	v_mul_f64 v[6:7], v[4:5], v[4:5]
	s_waitcnt vmcnt(0)
	v_fma_f64 v[8:9], v[6:7], s[8:9], v[8:9]
	s_mov_b32 s8, 0x69efb384
	s_mov_b32 s9, 0x3f4b2bb0
	v_fma_f64 v[8:9], v[6:7], v[8:9], s[8:9]
	s_mov_b32 s8, 0xaf56de9b
	s_mov_b32 s9, 0xbf67952d
	;; [unrolled: 3-line block ×18, first 2 shown]
	v_fma_f64 v[8:9], v[6:7], v[8:9], s[8:9]
	v_mul_f64 v[6:7], v[6:7], v[8:9]
	v_fma_f64 v[4:5], v[4:5], v[6:7], v[4:5]
	buffer_load_dword v6, off, s[0:3], 0 offset:172 ; 4-byte Folded Reload
	buffer_load_dword v7, off, s[0:3], 0 offset:176 ; 4-byte Folded Reload
	s_waitcnt vmcnt(0)
	v_fma_f64 v[6:7], s[26:27], v[6:7], -v[4:5]
	v_cndmask_b32_e64 v2, v4, v6, s[6:7]
	v_cndmask_b32_e64 v4, v5, v7, s[6:7]
	v_bfi_b32 v3, s33, v4, v3
	v_fma_f64 v[0:1], v[31:32], v[0:1], v[2:3]
	v_add_f64 v[0:1], v[0:1], v[0:1]
	v_trig_preop_f64 v[6:7], |v[0:1]|, 0
	v_trig_preop_f64 v[4:5], |v[0:1]|, 1
	;; [unrolled: 1-line block ×3, first 2 shown]
	v_cmp_nlt_f64_e64 s[8:9], |v[0:1]|, s[80:81]
	v_ldexp_f64 v[8:9], |v[0:1]|, s12
	v_and_b32_e32 v16, 0x7fffffff, v1
	s_and_saveexec_b64 s[6:7], s[8:9]
	s_xor_b64 s[10:11], exec, s[6:7]
	s_cbranch_execz .LBB0_83
; %bb.82:                               ;   in Loop: Header=BB0_34 Depth=1
	v_cmp_ge_f64_e64 vcc, |v[0:1]|, s[82:83]
	v_cndmask_b32_e32 v15, v16, v9, vcc
	v_cndmask_b32_e32 v14, v0, v8, vcc
	v_mul_f64 v[20:21], v[6:7], v[14:15]
	v_mul_f64 v[10:11], v[4:5], v[14:15]
	;; [unrolled: 1-line block ×3, first 2 shown]
	v_fma_f64 v[23:24], v[6:7], v[14:15], -v[20:21]
	v_add_f64 v[25:26], v[10:11], v[23:24]
	v_add_f64 v[29:30], v[25:26], -v[10:11]
	v_add_f64 v[27:28], v[20:21], v[25:26]
	v_add_f64 v[23:24], v[23:24], -v[29:30]
	v_add_f64 v[29:30], v[25:26], -v[29:30]
	v_ldexp_f64 v[12:13], v[27:28], -2
	v_add_f64 v[29:30], v[10:11], -v[29:30]
	v_fract_f64_e32 v[18:19], v[12:13]
	v_cmp_neq_f64_e64 vcc, |v[12:13]|, s[84:85]
	v_add_f64 v[23:24], v[23:24], v[29:30]
	v_fma_f64 v[29:30], v[4:5], v[14:15], -v[10:11]
	v_add_f64 v[10:11], v[27:28], -v[20:21]
	v_ldexp_f64 v[18:19], v[18:19], 2
	v_fma_f64 v[14:15], v[2:3], v[14:15], -v[31:32]
	v_add_f64 v[33:34], v[31:32], v[29:30]
	v_add_f64 v[20:21], v[25:26], -v[10:11]
	v_cndmask_b32_e32 v13, 0, v19, vcc
	v_cndmask_b32_e32 v12, 0, v18, vcc
	v_add_f64 v[35:36], v[33:34], v[23:24]
	v_add_f64 v[25:26], v[35:36], -v[33:34]
	v_add_f64 v[10:11], v[20:21], v[35:36]
	v_add_f64 v[23:24], v[23:24], -v[25:26]
	v_add_f64 v[25:26], v[35:36], -v[25:26]
	v_add_f64 v[18:19], v[10:11], v[12:13]
	v_add_f64 v[20:21], v[10:11], -v[20:21]
	v_add_f64 v[25:26], v[33:34], -v[25:26]
	v_cmp_gt_f64_e32 vcc, 0, v[18:19]
	v_add_f64 v[20:21], v[35:36], -v[20:21]
	v_add_f64 v[23:24], v[23:24], v[25:26]
	v_add_f64 v[25:26], v[33:34], -v[31:32]
	v_cndmask_b32_e32 v56, 0, v54, vcc
	v_add_f64 v[12:13], v[12:13], v[55:56]
	v_add_f64 v[27:28], v[29:30], -v[25:26]
	v_add_f64 v[25:26], v[33:34], -v[25:26]
	v_add_f64 v[18:19], v[10:11], v[12:13]
	buffer_load_dword v29, off, s[0:3], 0 offset:108 ; 4-byte Folded Reload
	buffer_load_dword v30, off, s[0:3], 0 offset:112 ; 4-byte Folded Reload
	v_add_f64 v[25:26], v[31:32], -v[25:26]
	buffer_load_dword v31, off, s[0:3], 0 offset:64 ; 4-byte Folded Reload
	buffer_load_dword v32, off, s[0:3], 0 offset:68 ; 4-byte Folded Reload
	v_add_f64 v[25:26], v[27:28], v[25:26]
	v_add_f64 v[23:24], v[25:26], v[23:24]
	;; [unrolled: 1-line block ×4, first 2 shown]
	v_cvt_i32_f64_e32 v20, v[18:19]
	v_cvt_f64_i32_e32 v[18:19], v20
	v_add_f64 v[12:13], v[12:13], -v[18:19]
	v_add_f64 v[18:19], v[10:11], v[12:13]
	v_add_f64 v[12:13], v[18:19], -v[12:13]
	v_cmp_le_f64_e32 vcc, 0.5, v[18:19]
	v_add_f64 v[10:11], v[10:11], -v[12:13]
	v_mov_b32_e32 v12, 0x3ff00000
	v_cndmask_b32_e32 v56, 0, v12, vcc
	v_add_f64 v[12:13], v[18:19], -v[55:56]
	v_addc_co_u32_e64 v20, s[6:7], 0, v20, vcc
	v_mov_b32_e32 v56, 0
	v_add_f64 v[10:11], v[14:15], v[10:11]
	v_add_f64 v[14:15], v[12:13], v[10:11]
	v_add_f64 v[12:13], v[14:15], -v[12:13]
	v_add_f64 v[10:11], v[10:11], -v[12:13]
	v_mul_f64 v[12:13], v[14:15], s[86:87]
	v_fma_f64 v[18:19], v[14:15], s[86:87], -v[12:13]
	v_fma_f64 v[14:15], v[14:15], s[38:39], v[18:19]
	v_fma_f64 v[14:15], v[10:11], s[86:87], v[14:15]
	v_add_f64 v[10:11], v[12:13], v[14:15]
	v_add_f64 v[12:13], v[10:11], -v[12:13]
	v_add_f64 v[12:13], v[14:15], -v[12:13]
.LBB0_83:                               ;   in Loop: Header=BB0_34 Depth=1
	s_andn2_saveexec_b64 s[6:7], s[10:11]
	s_cbranch_execz .LBB0_85
; %bb.84:                               ;   in Loop: Header=BB0_34 Depth=1
	v_mul_f64 v[10:11], |v[0:1]|, s[40:41]
	s_mov_b32 s36, s86
	s_mov_b32 s10, s42
	;; [unrolled: 1-line block ×3, first 2 shown]
	v_rndne_f64_e32 v[14:15], v[10:11]
	v_fma_f64 v[10:11], v[14:15], s[36:37], |v[0:1]|
	v_mul_f64 v[12:13], v[14:15], s[42:43]
	v_fma_f64 v[23:24], v[14:15], s[42:43], v[10:11]
	v_add_f64 v[18:19], v[10:11], v[12:13]
	v_add_f64 v[20:21], v[10:11], -v[18:19]
	v_add_f64 v[18:19], v[18:19], -v[23:24]
	v_add_f64 v[10:11], v[20:21], v[12:13]
	v_fma_f64 v[12:13], v[14:15], s[10:11], v[12:13]
	v_cvt_i32_f64_e32 v20, v[14:15]
	v_add_f64 v[10:11], v[18:19], v[10:11]
	v_add_f64 v[10:11], v[10:11], -v[12:13]
	v_fma_f64 v[12:13], v[14:15], s[44:45], v[10:11]
	v_add_f64 v[10:11], v[23:24], v[12:13]
	v_add_f64 v[18:19], v[10:11], -v[23:24]
	v_add_f64 v[12:13], v[12:13], -v[18:19]
.LBB0_85:                               ;   in Loop: Header=BB0_34 Depth=1
	s_or_b64 exec, exec, s[6:7]
	buffer_load_dword v21, off, s[0:3], 0 offset:116 ; 4-byte Folded Reload
	buffer_load_dword v22, off, s[0:3], 0 offset:120 ; 4-byte Folded Reload
	v_mul_f64 v[18:19], v[10:11], v[10:11]
	s_mov_b32 s56, s94
	v_mul_f64 v[14:15], v[18:19], 0.5
	v_add_f64 v[23:24], -v[14:15], 1.0
	v_add_f64 v[25:26], -v[23:24], 1.0
	v_add_f64 v[14:15], v[25:26], -v[14:15]
	v_mul_f64 v[25:26], v[18:19], v[18:19]
	v_fma_f64 v[14:15], v[10:11], -v[12:13], v[14:15]
	s_waitcnt vmcnt(0)
	v_fma_f64 v[27:28], v[18:19], s[48:49], v[21:22]
	buffer_load_dword v21, off, s[0:3], 0 offset:124 ; 4-byte Folded Reload
	buffer_load_dword v22, off, s[0:3], 0 offset:128 ; 4-byte Folded Reload
	v_fma_f64 v[27:28], v[18:19], v[27:28], s[50:51]
	v_fma_f64 v[27:28], v[18:19], v[27:28], s[52:53]
	;; [unrolled: 1-line block ×5, first 2 shown]
	v_mul_f64 v[25:26], v[10:11], -v[18:19]
	v_mul_f64 v[27:28], v[12:13], 0.5
	v_add_f64 v[14:15], v[23:24], v[14:15]
	s_waitcnt vmcnt(0)
	v_fma_f64 v[23:24], v[18:19], s[60:61], v[21:22]
	v_fma_f64 v[23:24], v[18:19], v[23:24], s[62:63]
	;; [unrolled: 1-line block ×5, first 2 shown]
	v_fma_f64 v[12:13], v[18:19], v[23:24], -v[12:13]
	v_fma_f64 v[12:13], v[25:26], s[56:57], v[12:13]
	v_add_f64 v[10:11], v[10:11], -v[12:13]
	v_and_b32_e32 v12, 1, v20
	v_cmp_eq_u32_e32 vcc, 0, v12
	v_lshlrev_b32_e32 v12, 30, v20
	v_and_b32_e32 v12, 0x80000000, v12
	v_xor_b32_e32 v11, 0x80000000, v11
	v_cndmask_b32_e32 v10, v10, v14, vcc
	v_cndmask_b32_e32 v11, v11, v15, vcc
	v_cmp_class_f64_e64 vcc, v[0:1], s16
	v_xor_b32_e32 v11, v11, v12
                                        ; implicit-def: $vgpr14
                                        ; implicit-def: $vgpr12_vgpr13
	v_cndmask_b32_e32 v11, v41, v11, vcc
	v_cndmask_b32_e32 v10, 0, v10, vcc
	buffer_store_dword v10, off, s[0:3], 0 offset:16
	buffer_store_dword v11, off, s[0:3], 0 offset:20
                                        ; implicit-def: $vgpr10_vgpr11
	s_and_saveexec_b64 s[6:7], s[8:9]
	s_xor_b64 s[10:11], exec, s[6:7]
	s_cbranch_execz .LBB0_87
; %bb.86:                               ;   in Loop: Header=BB0_34 Depth=1
	v_cmp_ge_f64_e64 s[6:7], |v[0:1]|, s[82:83]
	v_cndmask_b32_e64 v11, v16, v9, s[6:7]
	v_cndmask_b32_e64 v10, v0, v8, s[6:7]
	v_mul_f64 v[14:15], v[6:7], v[10:11]
	v_mul_f64 v[12:13], v[4:5], v[10:11]
	v_fma_f64 v[18:19], v[6:7], v[10:11], -v[14:15]
	v_add_f64 v[20:21], v[12:13], v[18:19]
	v_add_f64 v[25:26], v[20:21], -v[12:13]
	v_add_f64 v[23:24], v[14:15], v[20:21]
	v_add_f64 v[18:19], v[18:19], -v[25:26]
	v_add_f64 v[25:26], v[20:21], -v[25:26]
	v_ldexp_f64 v[6:7], v[23:24], -2
	v_add_f64 v[25:26], v[12:13], -v[25:26]
	v_fma_f64 v[12:13], v[4:5], v[10:11], -v[12:13]
	v_add_f64 v[4:5], v[23:24], -v[14:15]
	v_fract_f64_e32 v[8:9], v[6:7]
	v_cmp_neq_f64_e64 s[6:7], |v[6:7]|, s[84:85]
	v_add_f64 v[18:19], v[18:19], v[25:26]
	v_mul_f64 v[25:26], v[2:3], v[10:11]
	v_add_f64 v[14:15], v[20:21], -v[4:5]
	v_ldexp_f64 v[8:9], v[8:9], 2
	v_add_f64 v[27:28], v[25:26], v[12:13]
	v_fma_f64 v[2:3], v[2:3], v[10:11], -v[25:26]
	v_cndmask_b32_e64 v7, 0, v9, s[6:7]
	v_cndmask_b32_e64 v6, 0, v8, s[6:7]
	v_add_f64 v[29:30], v[27:28], v[18:19]
	v_add_f64 v[4:5], v[14:15], v[29:30]
	v_add_f64 v[20:21], v[29:30], -v[27:28]
	v_add_f64 v[8:9], v[4:5], v[6:7]
	v_add_f64 v[18:19], v[18:19], -v[20:21]
	v_add_f64 v[20:21], v[29:30], -v[20:21]
	;; [unrolled: 1-line block ×3, first 2 shown]
	v_cmp_gt_f64_e64 s[6:7], 0, v[8:9]
	v_add_f64 v[20:21], v[27:28], -v[20:21]
	v_add_f64 v[14:15], v[29:30], -v[14:15]
	buffer_load_dword v29, off, s[0:3], 0 offset:108 ; 4-byte Folded Reload
	buffer_load_dword v30, off, s[0:3], 0 offset:112 ; 4-byte Folded Reload
	v_cndmask_b32_e64 v56, 0, v54, s[6:7]
	v_add_f64 v[6:7], v[6:7], v[55:56]
	v_add_f64 v[18:19], v[18:19], v[20:21]
	v_add_f64 v[20:21], v[27:28], -v[25:26]
	v_add_f64 v[8:9], v[4:5], v[6:7]
	v_add_f64 v[12:13], v[12:13], -v[20:21]
	v_add_f64 v[20:21], v[27:28], -v[20:21]
	v_cvt_i32_f64_e32 v10, v[8:9]
	v_add_f64 v[20:21], v[25:26], -v[20:21]
	v_cvt_f64_i32_e32 v[8:9], v10
	v_add_f64 v[6:7], v[6:7], -v[8:9]
	v_add_f64 v[12:13], v[12:13], v[20:21]
	v_add_f64 v[8:9], v[4:5], v[6:7]
	;; [unrolled: 1-line block ×3, first 2 shown]
	v_add_f64 v[6:7], v[8:9], -v[6:7]
	v_cmp_le_f64_e64 s[6:7], 0.5, v[8:9]
	v_add_f64 v[2:3], v[2:3], v[12:13]
	v_add_f64 v[4:5], v[4:5], -v[6:7]
	v_add_f64 v[2:3], v[14:15], v[2:3]
	v_addc_co_u32_e64 v14, s[8:9], 0, v10, s[6:7]
	v_add_f64 v[2:3], v[2:3], v[4:5]
	v_mov_b32_e32 v4, 0x3ff00000
	v_cndmask_b32_e64 v56, 0, v4, s[6:7]
	v_add_f64 v[4:5], v[8:9], -v[55:56]
	v_mov_b32_e32 v56, 0
	v_add_f64 v[6:7], v[4:5], v[2:3]
	v_add_f64 v[4:5], v[6:7], -v[4:5]
	v_add_f64 v[2:3], v[2:3], -v[4:5]
	v_mul_f64 v[4:5], v[6:7], s[86:87]
	v_fma_f64 v[8:9], v[6:7], s[86:87], -v[4:5]
	v_fma_f64 v[6:7], v[6:7], s[38:39], v[8:9]
	v_fma_f64 v[2:3], v[2:3], s[86:87], v[6:7]
	v_add_f64 v[10:11], v[4:5], v[2:3]
	v_add_f64 v[4:5], v[10:11], -v[4:5]
	v_add_f64 v[12:13], v[2:3], -v[4:5]
.LBB0_87:                               ;   in Loop: Header=BB0_34 Depth=1
	s_andn2_saveexec_b64 s[6:7], s[10:11]
	s_cbranch_execz .LBB0_89
; %bb.88:                               ;   in Loop: Header=BB0_34 Depth=1
	v_mul_f64 v[2:3], |v[0:1]|, s[40:41]
	s_mov_b32 s36, s86
	s_mov_b32 s8, s42
	;; [unrolled: 1-line block ×3, first 2 shown]
	v_rndne_f64_e32 v[2:3], v[2:3]
	v_fma_f64 v[4:5], v[2:3], s[36:37], |v[0:1]|
	v_mul_f64 v[6:7], v[2:3], s[42:43]
	v_cvt_i32_f64_e32 v14, v[2:3]
	v_add_f64 v[8:9], v[4:5], v[6:7]
	v_add_f64 v[10:11], v[4:5], -v[8:9]
	v_fma_f64 v[4:5], v[2:3], s[42:43], v[4:5]
	v_add_f64 v[10:11], v[10:11], v[6:7]
	v_add_f64 v[8:9], v[8:9], -v[4:5]
	v_fma_f64 v[6:7], v[2:3], s[8:9], v[6:7]
	;; [unrolled: 3-line block ×3, first 2 shown]
	v_add_f64 v[10:11], v[4:5], v[6:7]
	v_add_f64 v[4:5], v[10:11], -v[4:5]
	v_add_f64 v[12:13], v[6:7], -v[4:5]
.LBB0_89:                               ;   in Loop: Header=BB0_34 Depth=1
	s_or_b64 exec, exec, s[6:7]
	buffer_load_dword v15, off, s[0:3], 0 offset:116 ; 4-byte Folded Reload
	buffer_load_dword v16, off, s[0:3], 0 offset:120 ; 4-byte Folded Reload
	v_mul_f64 v[2:3], v[10:11], v[10:11]
	s_mov_b32 s56, s94
	v_and_b32_e32 v0, 1, v14
	v_cmp_eq_u32_e64 s[6:7], 0, v0
                                        ; implicit-def: $vgpr20
	v_mul_f64 v[4:5], v[2:3], 0.5
	v_add_f64 v[6:7], -v[4:5], 1.0
	v_add_f64 v[8:9], -v[6:7], 1.0
	v_add_f64 v[4:5], v[8:9], -v[4:5]
	v_mul_f64 v[8:9], v[2:3], v[2:3]
	v_fma_f64 v[4:5], v[10:11], -v[12:13], v[4:5]
	s_waitcnt vmcnt(0)
	v_fma_f64 v[15:16], v[2:3], s[48:49], v[15:16]
	v_fma_f64 v[15:16], v[2:3], v[15:16], s[50:51]
	;; [unrolled: 1-line block ×6, first 2 shown]
	v_mul_f64 v[8:9], v[10:11], -v[2:3]
	v_mul_f64 v[15:16], v[12:13], 0.5
	v_add_f64 v[4:5], v[6:7], v[4:5]
	buffer_load_dword v6, off, s[0:3], 0 offset:124 ; 4-byte Folded Reload
	buffer_load_dword v7, off, s[0:3], 0 offset:128 ; 4-byte Folded Reload
	s_waitcnt vmcnt(0)
	v_fma_f64 v[6:7], v[2:3], s[60:61], v[6:7]
	v_fma_f64 v[6:7], v[2:3], v[6:7], s[62:63]
	;; [unrolled: 1-line block ×5, first 2 shown]
	v_fma_f64 v[2:3], v[2:3], v[6:7], -v[12:13]
	v_fma_f64 v[2:3], v[8:9], s[56:57], v[2:3]
	v_add_f64 v[2:3], v[10:11], -v[2:3]
	v_cndmask_b32_e64 v0, v4, v2, s[6:7]
	v_cndmask_b32_e64 v2, v5, v3, s[6:7]
	v_lshlrev_b32_e32 v3, 30, v14
	v_xor_b32_e32 v1, v3, v1
	v_and_b32_e32 v1, 0x80000000, v1
	v_xor_b32_e32 v1, v2, v1
	v_cndmask_b32_e32 v0, 0, v0, vcc
	v_mov_b32_e32 v2, 0xfff80000
	v_cndmask_b32_e64 v1, v2, -v1, vcc
	buffer_store_dword v0, off, s[0:3], 0 offset:24
	buffer_store_dword v1, off, s[0:3], 0 offset:28
	global_load_dwordx2 v[0:1], v[45:46], off offset:16
	s_mov_b32 s6, 0
	s_mov_b32 s7, 0x40080000
	s_waitcnt vmcnt(0)
	v_mul_f64 v[2:3], v[31:32], v[0:1]
	v_mul_f64 v[4:5], v[2:3], s[6:7]
	v_fma_f64 v[2:3], -v[2:3], v[2:3], s[6:7]
	v_div_scale_f64 v[6:7], s[6:7], v[2:3], v[2:3], v[4:5]
	v_rcp_f64_e32 v[8:9], v[6:7]
	v_fma_f64 v[10:11], -v[6:7], v[8:9], 1.0
	v_fma_f64 v[8:9], v[8:9], v[10:11], v[8:9]
	v_fma_f64 v[10:11], -v[6:7], v[8:9], 1.0
	v_fma_f64 v[8:9], v[8:9], v[10:11], v[8:9]
	v_div_scale_f64 v[10:11], vcc, v[4:5], v[2:3], v[4:5]
	v_mul_f64 v[12:13], v[10:11], v[8:9]
	v_fma_f64 v[6:7], -v[6:7], v[12:13], v[10:11]
	s_nop 1
	v_div_fmas_f64 v[6:7], v[6:7], v[8:9], v[12:13]
	v_div_fixup_f64 v[2:3], v[6:7], v[2:3], v[4:5]
	v_and_b32_e32 v5, 0x7fffffff, v3
	v_mov_b32_e32 v4, v2
	v_div_scale_f64 v[6:7], s[8:9], v[4:5], v[4:5], 1.0
	v_cmp_gt_f64_e64 s[6:7], |v[2:3]|, 1.0
	s_mov_b32 s8, 0xb5e68a13
	s_mov_b32 s9, 0x3eeba404
	v_rcp_f64_e32 v[8:9], v[6:7]
	v_fma_f64 v[10:11], -v[6:7], v[8:9], 1.0
	v_fma_f64 v[8:9], v[8:9], v[10:11], v[8:9]
	v_fma_f64 v[10:11], -v[6:7], v[8:9], 1.0
	v_fma_f64 v[8:9], v[8:9], v[10:11], v[8:9]
	v_div_scale_f64 v[10:11], vcc, 1.0, v[4:5], 1.0
	v_mul_f64 v[12:13], v[10:11], v[8:9]
	v_fma_f64 v[6:7], -v[6:7], v[12:13], v[10:11]
                                        ; implicit-def: $vgpr10_vgpr11
	s_nop 1
	v_div_fmas_f64 v[6:7], v[6:7], v[8:9], v[12:13]
	buffer_load_dword v8, off, s[0:3], 0 offset:164 ; 4-byte Folded Reload
	buffer_load_dword v9, off, s[0:3], 0 offset:168 ; 4-byte Folded Reload
                                        ; implicit-def: $vgpr12_vgpr13
	v_div_fixup_f64 v[6:7], v[6:7], |v[2:3]|, 1.0
	v_cndmask_b32_e64 v5, v5, v7, s[6:7]
	v_cndmask_b32_e64 v4, v2, v6, s[6:7]
	v_mul_f64 v[6:7], v[4:5], v[4:5]
	s_waitcnt vmcnt(0)
	v_fma_f64 v[8:9], v[6:7], s[8:9], v[8:9]
	s_mov_b32 s8, 0x69efb384
	s_mov_b32 s9, 0x3f4b2bb0
	v_fma_f64 v[8:9], v[6:7], v[8:9], s[8:9]
	s_mov_b32 s8, 0xaf56de9b
	s_mov_b32 s9, 0xbf67952d
	;; [unrolled: 3-line block ×18, first 2 shown]
	v_fma_f64 v[8:9], v[6:7], v[8:9], s[8:9]
	v_mul_f64 v[6:7], v[6:7], v[8:9]
	v_fma_f64 v[4:5], v[4:5], v[6:7], v[4:5]
	buffer_load_dword v6, off, s[0:3], 0 offset:172 ; 4-byte Folded Reload
	buffer_load_dword v7, off, s[0:3], 0 offset:176 ; 4-byte Folded Reload
	s_waitcnt vmcnt(0)
	v_fma_f64 v[6:7], s[26:27], v[6:7], -v[4:5]
	v_cndmask_b32_e64 v2, v4, v6, s[6:7]
	v_cndmask_b32_e64 v4, v5, v7, s[6:7]
	v_bfi_b32 v3, s33, v4, v3
	v_fma_f64 v[0:1], v[31:32], v[0:1], -v[2:3]
	v_add_f64 v[0:1], v[0:1], v[0:1]
	v_trig_preop_f64 v[6:7], |v[0:1]|, 0
	v_trig_preop_f64 v[4:5], |v[0:1]|, 1
	;; [unrolled: 1-line block ×3, first 2 shown]
	v_cmp_nlt_f64_e64 s[8:9], |v[0:1]|, s[80:81]
	v_ldexp_f64 v[8:9], |v[0:1]|, s12
	v_and_b32_e32 v16, 0x7fffffff, v1
	s_and_saveexec_b64 s[6:7], s[8:9]
	s_xor_b64 s[10:11], exec, s[6:7]
	s_cbranch_execz .LBB0_91
; %bb.90:                               ;   in Loop: Header=BB0_34 Depth=1
	v_cmp_ge_f64_e64 vcc, |v[0:1]|, s[82:83]
	v_cndmask_b32_e32 v15, v16, v9, vcc
	v_cndmask_b32_e32 v14, v0, v8, vcc
	v_mul_f64 v[20:21], v[6:7], v[14:15]
	v_mul_f64 v[10:11], v[4:5], v[14:15]
	;; [unrolled: 1-line block ×3, first 2 shown]
	v_fma_f64 v[23:24], v[6:7], v[14:15], -v[20:21]
	v_add_f64 v[25:26], v[10:11], v[23:24]
	v_add_f64 v[29:30], v[25:26], -v[10:11]
	v_add_f64 v[27:28], v[20:21], v[25:26]
	v_add_f64 v[23:24], v[23:24], -v[29:30]
	v_add_f64 v[29:30], v[25:26], -v[29:30]
	v_ldexp_f64 v[12:13], v[27:28], -2
	v_add_f64 v[29:30], v[10:11], -v[29:30]
	v_fract_f64_e32 v[18:19], v[12:13]
	v_cmp_neq_f64_e64 vcc, |v[12:13]|, s[84:85]
	v_add_f64 v[23:24], v[23:24], v[29:30]
	v_fma_f64 v[29:30], v[4:5], v[14:15], -v[10:11]
	v_add_f64 v[10:11], v[27:28], -v[20:21]
	v_ldexp_f64 v[18:19], v[18:19], 2
	v_fma_f64 v[14:15], v[2:3], v[14:15], -v[31:32]
	v_add_f64 v[33:34], v[31:32], v[29:30]
	v_add_f64 v[20:21], v[25:26], -v[10:11]
	v_cndmask_b32_e32 v13, 0, v19, vcc
	v_cndmask_b32_e32 v12, 0, v18, vcc
	v_add_f64 v[35:36], v[33:34], v[23:24]
	v_add_f64 v[25:26], v[35:36], -v[33:34]
	v_add_f64 v[10:11], v[20:21], v[35:36]
	v_add_f64 v[23:24], v[23:24], -v[25:26]
	v_add_f64 v[25:26], v[35:36], -v[25:26]
	v_add_f64 v[18:19], v[10:11], v[12:13]
	v_add_f64 v[20:21], v[10:11], -v[20:21]
	v_add_f64 v[25:26], v[33:34], -v[25:26]
	v_cmp_gt_f64_e32 vcc, 0, v[18:19]
	v_add_f64 v[20:21], v[35:36], -v[20:21]
	v_add_f64 v[23:24], v[23:24], v[25:26]
	v_add_f64 v[25:26], v[33:34], -v[31:32]
	v_cndmask_b32_e32 v56, 0, v54, vcc
	v_add_f64 v[12:13], v[12:13], v[55:56]
	v_add_f64 v[27:28], v[29:30], -v[25:26]
	v_add_f64 v[25:26], v[33:34], -v[25:26]
	v_add_f64 v[18:19], v[10:11], v[12:13]
	buffer_load_dword v29, off, s[0:3], 0 offset:108 ; 4-byte Folded Reload
	buffer_load_dword v30, off, s[0:3], 0 offset:112 ; 4-byte Folded Reload
	v_add_f64 v[25:26], v[31:32], -v[25:26]
	buffer_load_dword v31, off, s[0:3], 0 offset:64 ; 4-byte Folded Reload
	buffer_load_dword v32, off, s[0:3], 0 offset:68 ; 4-byte Folded Reload
	v_add_f64 v[25:26], v[27:28], v[25:26]
	v_add_f64 v[23:24], v[25:26], v[23:24]
	;; [unrolled: 1-line block ×4, first 2 shown]
	v_cvt_i32_f64_e32 v20, v[18:19]
	v_cvt_f64_i32_e32 v[18:19], v20
	v_add_f64 v[12:13], v[12:13], -v[18:19]
	v_add_f64 v[18:19], v[10:11], v[12:13]
	v_add_f64 v[12:13], v[18:19], -v[12:13]
	v_cmp_le_f64_e32 vcc, 0.5, v[18:19]
	v_add_f64 v[10:11], v[10:11], -v[12:13]
	v_mov_b32_e32 v12, 0x3ff00000
	v_cndmask_b32_e32 v56, 0, v12, vcc
	v_add_f64 v[12:13], v[18:19], -v[55:56]
	v_addc_co_u32_e64 v20, s[6:7], 0, v20, vcc
	v_mov_b32_e32 v56, 0
	v_add_f64 v[10:11], v[14:15], v[10:11]
	v_add_f64 v[14:15], v[12:13], v[10:11]
	v_add_f64 v[12:13], v[14:15], -v[12:13]
	v_add_f64 v[10:11], v[10:11], -v[12:13]
	v_mul_f64 v[12:13], v[14:15], s[86:87]
	v_fma_f64 v[18:19], v[14:15], s[86:87], -v[12:13]
	v_fma_f64 v[14:15], v[14:15], s[38:39], v[18:19]
	v_fma_f64 v[14:15], v[10:11], s[86:87], v[14:15]
	v_add_f64 v[10:11], v[12:13], v[14:15]
	v_add_f64 v[12:13], v[10:11], -v[12:13]
	v_add_f64 v[12:13], v[14:15], -v[12:13]
.LBB0_91:                               ;   in Loop: Header=BB0_34 Depth=1
	s_andn2_saveexec_b64 s[6:7], s[10:11]
	s_cbranch_execz .LBB0_93
; %bb.92:                               ;   in Loop: Header=BB0_34 Depth=1
	v_mul_f64 v[10:11], |v[0:1]|, s[40:41]
	s_mov_b32 s36, s86
	s_mov_b32 s10, s42
	;; [unrolled: 1-line block ×3, first 2 shown]
	v_rndne_f64_e32 v[14:15], v[10:11]
	v_fma_f64 v[10:11], v[14:15], s[36:37], |v[0:1]|
	v_mul_f64 v[12:13], v[14:15], s[42:43]
	v_fma_f64 v[23:24], v[14:15], s[42:43], v[10:11]
	v_add_f64 v[18:19], v[10:11], v[12:13]
	v_add_f64 v[20:21], v[10:11], -v[18:19]
	v_add_f64 v[18:19], v[18:19], -v[23:24]
	v_add_f64 v[10:11], v[20:21], v[12:13]
	v_fma_f64 v[12:13], v[14:15], s[10:11], v[12:13]
	v_cvt_i32_f64_e32 v20, v[14:15]
	v_add_f64 v[10:11], v[18:19], v[10:11]
	v_add_f64 v[10:11], v[10:11], -v[12:13]
	v_fma_f64 v[12:13], v[14:15], s[44:45], v[10:11]
	v_add_f64 v[10:11], v[23:24], v[12:13]
	v_add_f64 v[18:19], v[10:11], -v[23:24]
	v_add_f64 v[12:13], v[12:13], -v[18:19]
.LBB0_93:                               ;   in Loop: Header=BB0_34 Depth=1
	s_or_b64 exec, exec, s[6:7]
	buffer_load_dword v21, off, s[0:3], 0 offset:116 ; 4-byte Folded Reload
	buffer_load_dword v22, off, s[0:3], 0 offset:120 ; 4-byte Folded Reload
	v_mul_f64 v[18:19], v[10:11], v[10:11]
	s_mov_b32 s56, s94
	v_mul_f64 v[14:15], v[18:19], 0.5
	v_add_f64 v[23:24], -v[14:15], 1.0
	v_add_f64 v[25:26], -v[23:24], 1.0
	v_add_f64 v[14:15], v[25:26], -v[14:15]
	v_mul_f64 v[25:26], v[18:19], v[18:19]
	v_fma_f64 v[14:15], v[10:11], -v[12:13], v[14:15]
	s_waitcnt vmcnt(0)
	v_fma_f64 v[27:28], v[18:19], s[48:49], v[21:22]
	buffer_load_dword v21, off, s[0:3], 0 offset:124 ; 4-byte Folded Reload
	buffer_load_dword v22, off, s[0:3], 0 offset:128 ; 4-byte Folded Reload
	v_fma_f64 v[27:28], v[18:19], v[27:28], s[50:51]
	v_fma_f64 v[27:28], v[18:19], v[27:28], s[52:53]
	;; [unrolled: 1-line block ×5, first 2 shown]
	v_mul_f64 v[25:26], v[10:11], -v[18:19]
	v_mul_f64 v[27:28], v[12:13], 0.5
	v_add_f64 v[14:15], v[23:24], v[14:15]
	s_waitcnt vmcnt(0)
	v_fma_f64 v[23:24], v[18:19], s[60:61], v[21:22]
	v_fma_f64 v[23:24], v[18:19], v[23:24], s[62:63]
	v_fma_f64 v[23:24], v[18:19], v[23:24], s[64:65]
	v_fma_f64 v[23:24], v[18:19], v[23:24], s[66:67]
	v_fma_f64 v[23:24], v[25:26], v[23:24], v[27:28]
	v_fma_f64 v[12:13], v[18:19], v[23:24], -v[12:13]
	v_fma_f64 v[12:13], v[25:26], s[56:57], v[12:13]
	v_add_f64 v[10:11], v[10:11], -v[12:13]
	v_and_b32_e32 v12, 1, v20
	v_cmp_eq_u32_e32 vcc, 0, v12
	v_lshlrev_b32_e32 v12, 30, v20
	v_and_b32_e32 v12, 0x80000000, v12
	v_xor_b32_e32 v11, 0x80000000, v11
	v_cndmask_b32_e32 v10, v10, v14, vcc
	v_cndmask_b32_e32 v11, v11, v15, vcc
	v_cmp_class_f64_e64 vcc, v[0:1], s16
	v_xor_b32_e32 v11, v11, v12
                                        ; implicit-def: $vgpr14
                                        ; implicit-def: $vgpr12_vgpr13
	v_cndmask_b32_e32 v11, v41, v11, vcc
	v_cndmask_b32_e32 v10, 0, v10, vcc
	buffer_store_dword v10, off, s[0:3], 0 offset:32
	buffer_store_dword v11, off, s[0:3], 0 offset:36
                                        ; implicit-def: $vgpr10_vgpr11
	s_and_saveexec_b64 s[6:7], s[8:9]
	s_xor_b64 s[10:11], exec, s[6:7]
	s_cbranch_execz .LBB0_95
; %bb.94:                               ;   in Loop: Header=BB0_34 Depth=1
	v_cmp_ge_f64_e64 s[6:7], |v[0:1]|, s[82:83]
	v_cndmask_b32_e64 v11, v16, v9, s[6:7]
	v_cndmask_b32_e64 v10, v0, v8, s[6:7]
	v_mul_f64 v[14:15], v[6:7], v[10:11]
	v_mul_f64 v[12:13], v[4:5], v[10:11]
	v_fma_f64 v[18:19], v[6:7], v[10:11], -v[14:15]
	v_add_f64 v[20:21], v[12:13], v[18:19]
	v_add_f64 v[25:26], v[20:21], -v[12:13]
	v_add_f64 v[23:24], v[14:15], v[20:21]
	v_add_f64 v[18:19], v[18:19], -v[25:26]
	v_add_f64 v[25:26], v[20:21], -v[25:26]
	v_ldexp_f64 v[6:7], v[23:24], -2
	v_add_f64 v[25:26], v[12:13], -v[25:26]
	v_fma_f64 v[12:13], v[4:5], v[10:11], -v[12:13]
	v_add_f64 v[4:5], v[23:24], -v[14:15]
	v_fract_f64_e32 v[8:9], v[6:7]
	v_cmp_neq_f64_e64 s[6:7], |v[6:7]|, s[84:85]
	v_add_f64 v[18:19], v[18:19], v[25:26]
	v_mul_f64 v[25:26], v[2:3], v[10:11]
	v_add_f64 v[14:15], v[20:21], -v[4:5]
	v_ldexp_f64 v[8:9], v[8:9], 2
	v_add_f64 v[27:28], v[25:26], v[12:13]
	v_fma_f64 v[2:3], v[2:3], v[10:11], -v[25:26]
	v_cndmask_b32_e64 v7, 0, v9, s[6:7]
	v_cndmask_b32_e64 v6, 0, v8, s[6:7]
	v_add_f64 v[29:30], v[27:28], v[18:19]
	v_add_f64 v[4:5], v[14:15], v[29:30]
	v_add_f64 v[20:21], v[29:30], -v[27:28]
	v_add_f64 v[8:9], v[4:5], v[6:7]
	v_add_f64 v[18:19], v[18:19], -v[20:21]
	v_add_f64 v[20:21], v[29:30], -v[20:21]
	;; [unrolled: 1-line block ×3, first 2 shown]
	v_cmp_gt_f64_e64 s[6:7], 0, v[8:9]
	v_add_f64 v[20:21], v[27:28], -v[20:21]
	v_add_f64 v[14:15], v[29:30], -v[14:15]
	buffer_load_dword v29, off, s[0:3], 0 offset:108 ; 4-byte Folded Reload
	buffer_load_dword v30, off, s[0:3], 0 offset:112 ; 4-byte Folded Reload
	v_cndmask_b32_e64 v56, 0, v54, s[6:7]
	v_add_f64 v[6:7], v[6:7], v[55:56]
	v_add_f64 v[18:19], v[18:19], v[20:21]
	v_add_f64 v[20:21], v[27:28], -v[25:26]
	v_add_f64 v[8:9], v[4:5], v[6:7]
	v_add_f64 v[12:13], v[12:13], -v[20:21]
	v_add_f64 v[20:21], v[27:28], -v[20:21]
	v_cvt_i32_f64_e32 v10, v[8:9]
	v_add_f64 v[20:21], v[25:26], -v[20:21]
	v_cvt_f64_i32_e32 v[8:9], v10
	v_add_f64 v[6:7], v[6:7], -v[8:9]
	v_add_f64 v[12:13], v[12:13], v[20:21]
	v_add_f64 v[8:9], v[4:5], v[6:7]
	;; [unrolled: 1-line block ×3, first 2 shown]
	v_add_f64 v[6:7], v[8:9], -v[6:7]
	v_cmp_le_f64_e64 s[6:7], 0.5, v[8:9]
	v_add_f64 v[2:3], v[2:3], v[12:13]
	v_add_f64 v[4:5], v[4:5], -v[6:7]
	v_add_f64 v[2:3], v[14:15], v[2:3]
	v_addc_co_u32_e64 v14, s[8:9], 0, v10, s[6:7]
	v_add_f64 v[2:3], v[2:3], v[4:5]
	v_mov_b32_e32 v4, 0x3ff00000
	v_cndmask_b32_e64 v56, 0, v4, s[6:7]
	v_add_f64 v[4:5], v[8:9], -v[55:56]
	v_mov_b32_e32 v56, 0
	v_add_f64 v[6:7], v[4:5], v[2:3]
	v_add_f64 v[4:5], v[6:7], -v[4:5]
	v_add_f64 v[2:3], v[2:3], -v[4:5]
	v_mul_f64 v[4:5], v[6:7], s[86:87]
	v_fma_f64 v[8:9], v[6:7], s[86:87], -v[4:5]
	v_fma_f64 v[6:7], v[6:7], s[38:39], v[8:9]
	v_fma_f64 v[2:3], v[2:3], s[86:87], v[6:7]
	v_add_f64 v[10:11], v[4:5], v[2:3]
	v_add_f64 v[4:5], v[10:11], -v[4:5]
	v_add_f64 v[12:13], v[2:3], -v[4:5]
.LBB0_95:                               ;   in Loop: Header=BB0_34 Depth=1
	s_andn2_saveexec_b64 s[6:7], s[10:11]
	s_cbranch_execz .LBB0_97
; %bb.96:                               ;   in Loop: Header=BB0_34 Depth=1
	v_mul_f64 v[2:3], |v[0:1]|, s[40:41]
	s_mov_b32 s36, s86
	s_mov_b32 s8, s42
	;; [unrolled: 1-line block ×3, first 2 shown]
	v_rndne_f64_e32 v[2:3], v[2:3]
	v_fma_f64 v[4:5], v[2:3], s[36:37], |v[0:1]|
	v_mul_f64 v[6:7], v[2:3], s[42:43]
	v_cvt_i32_f64_e32 v14, v[2:3]
	v_add_f64 v[8:9], v[4:5], v[6:7]
	v_add_f64 v[10:11], v[4:5], -v[8:9]
	v_fma_f64 v[4:5], v[2:3], s[42:43], v[4:5]
	v_add_f64 v[10:11], v[10:11], v[6:7]
	v_add_f64 v[8:9], v[8:9], -v[4:5]
	v_fma_f64 v[6:7], v[2:3], s[8:9], v[6:7]
	v_add_f64 v[8:9], v[8:9], v[10:11]
	v_add_f64 v[6:7], v[8:9], -v[6:7]
	v_fma_f64 v[6:7], v[2:3], s[44:45], v[6:7]
	v_add_f64 v[10:11], v[4:5], v[6:7]
	v_add_f64 v[4:5], v[10:11], -v[4:5]
	v_add_f64 v[12:13], v[6:7], -v[4:5]
.LBB0_97:                               ;   in Loop: Header=BB0_34 Depth=1
	s_or_b64 exec, exec, s[6:7]
	buffer_load_dword v15, off, s[0:3], 0 offset:116 ; 4-byte Folded Reload
	buffer_load_dword v16, off, s[0:3], 0 offset:120 ; 4-byte Folded Reload
	v_mul_f64 v[2:3], v[10:11], v[10:11]
	s_mov_b32 s56, s94
	v_and_b32_e32 v0, 1, v14
	v_cmp_eq_u32_e64 s[6:7], 0, v0
	s_mov_b32 s8, 0
	s_mov_b32 s9, 0xc0180000
                                        ; implicit-def: $vgpr20
	v_mul_f64 v[4:5], v[2:3], 0.5
	v_add_f64 v[6:7], -v[4:5], 1.0
	v_add_f64 v[8:9], -v[6:7], 1.0
	v_add_f64 v[4:5], v[8:9], -v[4:5]
	v_mul_f64 v[8:9], v[2:3], v[2:3]
	v_fma_f64 v[4:5], v[10:11], -v[12:13], v[4:5]
	s_waitcnt vmcnt(0)
	v_fma_f64 v[15:16], v[2:3], s[48:49], v[15:16]
	v_fma_f64 v[15:16], v[2:3], v[15:16], s[50:51]
	;; [unrolled: 1-line block ×6, first 2 shown]
	v_mul_f64 v[8:9], v[10:11], -v[2:3]
	v_mul_f64 v[15:16], v[12:13], 0.5
	v_add_f64 v[4:5], v[6:7], v[4:5]
	buffer_load_dword v6, off, s[0:3], 0 offset:124 ; 4-byte Folded Reload
	buffer_load_dword v7, off, s[0:3], 0 offset:128 ; 4-byte Folded Reload
	s_waitcnt vmcnt(0)
	v_fma_f64 v[6:7], v[2:3], s[60:61], v[6:7]
	v_fma_f64 v[6:7], v[2:3], v[6:7], s[62:63]
	;; [unrolled: 1-line block ×5, first 2 shown]
	v_fma_f64 v[2:3], v[2:3], v[6:7], -v[12:13]
	v_fma_f64 v[2:3], v[8:9], s[56:57], v[2:3]
	v_add_f64 v[2:3], v[10:11], -v[2:3]
	v_cndmask_b32_e64 v0, v4, v2, s[6:7]
	v_cndmask_b32_e64 v2, v5, v3, s[6:7]
	v_lshlrev_b32_e32 v3, 30, v14
	v_xor_b32_e32 v1, v3, v1
	v_and_b32_e32 v1, 0x80000000, v1
	v_xor_b32_e32 v1, v2, v1
	v_cndmask_b32_e32 v0, 0, v0, vcc
	v_mov_b32_e32 v2, 0xfff80000
	v_cndmask_b32_e64 v1, v2, -v1, vcc
	buffer_store_dword v0, off, s[0:3], 0 offset:40
	buffer_store_dword v1, off, s[0:3], 0 offset:44
	global_load_dwordx2 v[0:1], v[45:46], off offset:24
	s_mov_b32 s6, 0
	s_mov_b32 s7, 0x402e0000
	s_waitcnt vmcnt(0)
	v_mul_f64 v[2:3], v[31:32], v[0:1]
	v_fma_f64 v[4:5], -v[2:3], v[2:3], s[6:7]
	v_mul_f64 v[6:7], v[2:3], s[8:9]
	v_mul_f64 v[4:5], v[2:3], v[4:5]
	v_fma_f64 v[2:3], v[2:3], v[6:7], s[6:7]
	v_div_scale_f64 v[6:7], s[6:7], v[2:3], v[2:3], v[4:5]
	v_rcp_f64_e32 v[8:9], v[6:7]
	v_fma_f64 v[10:11], -v[6:7], v[8:9], 1.0
	v_fma_f64 v[8:9], v[8:9], v[10:11], v[8:9]
	v_fma_f64 v[10:11], -v[6:7], v[8:9], 1.0
	v_fma_f64 v[8:9], v[8:9], v[10:11], v[8:9]
	v_div_scale_f64 v[10:11], vcc, v[4:5], v[2:3], v[4:5]
	v_mul_f64 v[12:13], v[10:11], v[8:9]
	v_fma_f64 v[6:7], -v[6:7], v[12:13], v[10:11]
	s_nop 1
	v_div_fmas_f64 v[6:7], v[6:7], v[8:9], v[12:13]
	v_div_fixup_f64 v[2:3], v[6:7], v[2:3], v[4:5]
	v_and_b32_e32 v5, 0x7fffffff, v3
	v_mov_b32_e32 v4, v2
	v_div_scale_f64 v[6:7], s[8:9], v[4:5], v[4:5], 1.0
	v_cmp_gt_f64_e64 s[6:7], |v[2:3]|, 1.0
	s_mov_b32 s8, 0xb5e68a13
	s_mov_b32 s9, 0x3eeba404
	v_rcp_f64_e32 v[8:9], v[6:7]
	v_fma_f64 v[10:11], -v[6:7], v[8:9], 1.0
	v_fma_f64 v[8:9], v[8:9], v[10:11], v[8:9]
	v_fma_f64 v[10:11], -v[6:7], v[8:9], 1.0
	v_fma_f64 v[8:9], v[8:9], v[10:11], v[8:9]
	v_div_scale_f64 v[10:11], vcc, 1.0, v[4:5], 1.0
	v_mul_f64 v[12:13], v[10:11], v[8:9]
	v_fma_f64 v[6:7], -v[6:7], v[12:13], v[10:11]
                                        ; implicit-def: $vgpr10_vgpr11
	s_nop 1
	v_div_fmas_f64 v[6:7], v[6:7], v[8:9], v[12:13]
	buffer_load_dword v8, off, s[0:3], 0 offset:164 ; 4-byte Folded Reload
	buffer_load_dword v9, off, s[0:3], 0 offset:168 ; 4-byte Folded Reload
                                        ; implicit-def: $vgpr12_vgpr13
	v_div_fixup_f64 v[6:7], v[6:7], |v[2:3]|, 1.0
	v_cndmask_b32_e64 v5, v5, v7, s[6:7]
	v_cndmask_b32_e64 v4, v2, v6, s[6:7]
	v_mul_f64 v[6:7], v[4:5], v[4:5]
	s_waitcnt vmcnt(0)
	v_fma_f64 v[8:9], v[6:7], s[8:9], v[8:9]
	s_mov_b32 s8, 0x69efb384
	s_mov_b32 s9, 0x3f4b2bb0
	v_fma_f64 v[8:9], v[6:7], v[8:9], s[8:9]
	s_mov_b32 s8, 0xaf56de9b
	s_mov_b32 s9, 0xbf67952d
	;; [unrolled: 3-line block ×18, first 2 shown]
	v_fma_f64 v[8:9], v[6:7], v[8:9], s[8:9]
	v_mul_f64 v[6:7], v[6:7], v[8:9]
	v_fma_f64 v[4:5], v[4:5], v[6:7], v[4:5]
	buffer_load_dword v6, off, s[0:3], 0 offset:172 ; 4-byte Folded Reload
	buffer_load_dword v7, off, s[0:3], 0 offset:176 ; 4-byte Folded Reload
	s_waitcnt vmcnt(0)
	v_fma_f64 v[6:7], s[26:27], v[6:7], -v[4:5]
	v_cndmask_b32_e64 v2, v4, v6, s[6:7]
	v_cndmask_b32_e64 v4, v5, v7, s[6:7]
	v_bfi_b32 v3, s33, v4, v3
	v_fma_f64 v[0:1], v[31:32], v[0:1], -v[2:3]
	v_add_f64 v[0:1], v[0:1], v[0:1]
	v_trig_preop_f64 v[6:7], |v[0:1]|, 0
	v_trig_preop_f64 v[4:5], |v[0:1]|, 1
	;; [unrolled: 1-line block ×3, first 2 shown]
	v_cmp_nlt_f64_e64 s[8:9], |v[0:1]|, s[80:81]
	v_ldexp_f64 v[8:9], |v[0:1]|, s12
	v_and_b32_e32 v16, 0x7fffffff, v1
	s_and_saveexec_b64 s[6:7], s[8:9]
	s_xor_b64 s[10:11], exec, s[6:7]
	s_cbranch_execz .LBB0_99
; %bb.98:                               ;   in Loop: Header=BB0_34 Depth=1
	v_cmp_ge_f64_e64 vcc, |v[0:1]|, s[82:83]
	v_cndmask_b32_e32 v15, v16, v9, vcc
	v_cndmask_b32_e32 v14, v0, v8, vcc
	v_mul_f64 v[20:21], v[6:7], v[14:15]
	v_mul_f64 v[10:11], v[4:5], v[14:15]
	;; [unrolled: 1-line block ×3, first 2 shown]
	v_fma_f64 v[23:24], v[6:7], v[14:15], -v[20:21]
	v_add_f64 v[25:26], v[10:11], v[23:24]
	v_add_f64 v[29:30], v[25:26], -v[10:11]
	v_add_f64 v[27:28], v[20:21], v[25:26]
	v_add_f64 v[23:24], v[23:24], -v[29:30]
	v_add_f64 v[29:30], v[25:26], -v[29:30]
	v_ldexp_f64 v[12:13], v[27:28], -2
	v_add_f64 v[29:30], v[10:11], -v[29:30]
	v_fract_f64_e32 v[18:19], v[12:13]
	v_cmp_neq_f64_e64 vcc, |v[12:13]|, s[84:85]
	v_add_f64 v[23:24], v[23:24], v[29:30]
	v_fma_f64 v[29:30], v[4:5], v[14:15], -v[10:11]
	v_add_f64 v[10:11], v[27:28], -v[20:21]
	v_ldexp_f64 v[18:19], v[18:19], 2
	v_fma_f64 v[14:15], v[2:3], v[14:15], -v[31:32]
	v_add_f64 v[33:34], v[31:32], v[29:30]
	v_add_f64 v[20:21], v[25:26], -v[10:11]
	v_cndmask_b32_e32 v13, 0, v19, vcc
	v_cndmask_b32_e32 v12, 0, v18, vcc
	v_add_f64 v[35:36], v[33:34], v[23:24]
	v_add_f64 v[25:26], v[35:36], -v[33:34]
	v_add_f64 v[10:11], v[20:21], v[35:36]
	v_add_f64 v[23:24], v[23:24], -v[25:26]
	v_add_f64 v[25:26], v[35:36], -v[25:26]
	v_add_f64 v[18:19], v[10:11], v[12:13]
	v_add_f64 v[20:21], v[10:11], -v[20:21]
	v_add_f64 v[25:26], v[33:34], -v[25:26]
	v_cmp_gt_f64_e32 vcc, 0, v[18:19]
	v_add_f64 v[20:21], v[35:36], -v[20:21]
	v_add_f64 v[23:24], v[23:24], v[25:26]
	v_add_f64 v[25:26], v[33:34], -v[31:32]
	v_cndmask_b32_e32 v56, 0, v54, vcc
	v_add_f64 v[12:13], v[12:13], v[55:56]
	v_add_f64 v[27:28], v[29:30], -v[25:26]
	v_add_f64 v[25:26], v[33:34], -v[25:26]
	v_add_f64 v[18:19], v[10:11], v[12:13]
	buffer_load_dword v29, off, s[0:3], 0 offset:108 ; 4-byte Folded Reload
	buffer_load_dword v30, off, s[0:3], 0 offset:112 ; 4-byte Folded Reload
	v_add_f64 v[25:26], v[31:32], -v[25:26]
	buffer_load_dword v31, off, s[0:3], 0 offset:64 ; 4-byte Folded Reload
	buffer_load_dword v32, off, s[0:3], 0 offset:68 ; 4-byte Folded Reload
	v_add_f64 v[25:26], v[27:28], v[25:26]
	v_add_f64 v[23:24], v[25:26], v[23:24]
	;; [unrolled: 1-line block ×4, first 2 shown]
	v_cvt_i32_f64_e32 v20, v[18:19]
	v_cvt_f64_i32_e32 v[18:19], v20
	v_add_f64 v[12:13], v[12:13], -v[18:19]
	v_add_f64 v[18:19], v[10:11], v[12:13]
	v_add_f64 v[12:13], v[18:19], -v[12:13]
	v_cmp_le_f64_e32 vcc, 0.5, v[18:19]
	v_add_f64 v[10:11], v[10:11], -v[12:13]
	v_mov_b32_e32 v12, 0x3ff00000
	v_cndmask_b32_e32 v56, 0, v12, vcc
	v_add_f64 v[12:13], v[18:19], -v[55:56]
	v_addc_co_u32_e64 v20, s[6:7], 0, v20, vcc
	v_mov_b32_e32 v56, 0
	v_add_f64 v[10:11], v[14:15], v[10:11]
	v_add_f64 v[14:15], v[12:13], v[10:11]
	v_add_f64 v[12:13], v[14:15], -v[12:13]
	v_add_f64 v[10:11], v[10:11], -v[12:13]
	v_mul_f64 v[12:13], v[14:15], s[86:87]
	v_fma_f64 v[18:19], v[14:15], s[86:87], -v[12:13]
	v_fma_f64 v[14:15], v[14:15], s[38:39], v[18:19]
	v_fma_f64 v[14:15], v[10:11], s[86:87], v[14:15]
	v_add_f64 v[10:11], v[12:13], v[14:15]
	v_add_f64 v[12:13], v[10:11], -v[12:13]
	v_add_f64 v[12:13], v[14:15], -v[12:13]
.LBB0_99:                               ;   in Loop: Header=BB0_34 Depth=1
	s_andn2_saveexec_b64 s[6:7], s[10:11]
	s_cbranch_execz .LBB0_101
; %bb.100:                              ;   in Loop: Header=BB0_34 Depth=1
	v_mul_f64 v[10:11], |v[0:1]|, s[40:41]
	s_mov_b32 s36, s86
	s_mov_b32 s10, s42
	;; [unrolled: 1-line block ×3, first 2 shown]
	v_rndne_f64_e32 v[14:15], v[10:11]
	v_fma_f64 v[10:11], v[14:15], s[36:37], |v[0:1]|
	v_mul_f64 v[12:13], v[14:15], s[42:43]
	v_fma_f64 v[23:24], v[14:15], s[42:43], v[10:11]
	v_add_f64 v[18:19], v[10:11], v[12:13]
	v_add_f64 v[20:21], v[10:11], -v[18:19]
	v_add_f64 v[18:19], v[18:19], -v[23:24]
	v_add_f64 v[10:11], v[20:21], v[12:13]
	v_fma_f64 v[12:13], v[14:15], s[10:11], v[12:13]
	v_cvt_i32_f64_e32 v20, v[14:15]
	v_add_f64 v[10:11], v[18:19], v[10:11]
	v_add_f64 v[10:11], v[10:11], -v[12:13]
	v_fma_f64 v[12:13], v[14:15], s[44:45], v[10:11]
	v_add_f64 v[10:11], v[23:24], v[12:13]
	v_add_f64 v[18:19], v[10:11], -v[23:24]
	v_add_f64 v[12:13], v[12:13], -v[18:19]
.LBB0_101:                              ;   in Loop: Header=BB0_34 Depth=1
	s_or_b64 exec, exec, s[6:7]
	buffer_load_dword v21, off, s[0:3], 0 offset:116 ; 4-byte Folded Reload
	buffer_load_dword v22, off, s[0:3], 0 offset:120 ; 4-byte Folded Reload
	v_mul_f64 v[18:19], v[10:11], v[10:11]
	s_mov_b32 s56, s94
	v_mul_f64 v[14:15], v[18:19], 0.5
	v_add_f64 v[23:24], -v[14:15], 1.0
	v_add_f64 v[25:26], -v[23:24], 1.0
	v_add_f64 v[14:15], v[25:26], -v[14:15]
	v_mul_f64 v[25:26], v[18:19], v[18:19]
	v_fma_f64 v[14:15], v[10:11], -v[12:13], v[14:15]
	s_waitcnt vmcnt(0)
	v_fma_f64 v[27:28], v[18:19], s[48:49], v[21:22]
	buffer_load_dword v21, off, s[0:3], 0 offset:124 ; 4-byte Folded Reload
	buffer_load_dword v22, off, s[0:3], 0 offset:128 ; 4-byte Folded Reload
	v_fma_f64 v[27:28], v[18:19], v[27:28], s[50:51]
	v_fma_f64 v[27:28], v[18:19], v[27:28], s[52:53]
	;; [unrolled: 1-line block ×5, first 2 shown]
	v_mul_f64 v[25:26], v[10:11], -v[18:19]
	v_mul_f64 v[27:28], v[12:13], 0.5
	v_add_f64 v[14:15], v[23:24], v[14:15]
	s_waitcnt vmcnt(0)
	v_fma_f64 v[23:24], v[18:19], s[60:61], v[21:22]
	v_fma_f64 v[23:24], v[18:19], v[23:24], s[62:63]
	;; [unrolled: 1-line block ×5, first 2 shown]
	v_fma_f64 v[12:13], v[18:19], v[23:24], -v[12:13]
	v_fma_f64 v[12:13], v[25:26], s[56:57], v[12:13]
	v_add_f64 v[10:11], v[10:11], -v[12:13]
	v_and_b32_e32 v12, 1, v20
	v_cmp_eq_u32_e32 vcc, 0, v12
	v_lshlrev_b32_e32 v12, 30, v20
	v_and_b32_e32 v12, 0x80000000, v12
	v_xor_b32_e32 v11, 0x80000000, v11
	v_cndmask_b32_e32 v10, v10, v14, vcc
	v_cndmask_b32_e32 v11, v11, v15, vcc
	v_cmp_class_f64_e64 vcc, v[0:1], s16
	v_xor_b32_e32 v11, v11, v12
                                        ; implicit-def: $vgpr14
                                        ; implicit-def: $vgpr12_vgpr13
	v_cndmask_b32_e32 v11, v41, v11, vcc
	v_cndmask_b32_e32 v10, 0, v10, vcc
	buffer_store_dword v10, off, s[0:3], 0 offset:48
	buffer_store_dword v11, off, s[0:3], 0 offset:52
                                        ; implicit-def: $vgpr10_vgpr11
	s_and_saveexec_b64 s[6:7], s[8:9]
	s_xor_b64 s[10:11], exec, s[6:7]
	s_cbranch_execz .LBB0_103
; %bb.102:                              ;   in Loop: Header=BB0_34 Depth=1
	v_cmp_ge_f64_e64 s[6:7], |v[0:1]|, s[82:83]
	v_cndmask_b32_e64 v11, v16, v9, s[6:7]
	v_cndmask_b32_e64 v10, v0, v8, s[6:7]
	v_mul_f64 v[14:15], v[6:7], v[10:11]
	v_mul_f64 v[12:13], v[4:5], v[10:11]
	v_fma_f64 v[18:19], v[6:7], v[10:11], -v[14:15]
	v_add_f64 v[20:21], v[12:13], v[18:19]
	v_add_f64 v[25:26], v[20:21], -v[12:13]
	v_add_f64 v[23:24], v[14:15], v[20:21]
	v_add_f64 v[18:19], v[18:19], -v[25:26]
	v_add_f64 v[25:26], v[20:21], -v[25:26]
	v_ldexp_f64 v[6:7], v[23:24], -2
	v_add_f64 v[25:26], v[12:13], -v[25:26]
	v_fma_f64 v[12:13], v[4:5], v[10:11], -v[12:13]
	v_add_f64 v[4:5], v[23:24], -v[14:15]
	v_fract_f64_e32 v[8:9], v[6:7]
	v_cmp_neq_f64_e64 s[6:7], |v[6:7]|, s[84:85]
	v_add_f64 v[18:19], v[18:19], v[25:26]
	v_mul_f64 v[25:26], v[2:3], v[10:11]
	v_add_f64 v[14:15], v[20:21], -v[4:5]
	v_ldexp_f64 v[8:9], v[8:9], 2
	v_add_f64 v[27:28], v[25:26], v[12:13]
	v_fma_f64 v[2:3], v[2:3], v[10:11], -v[25:26]
	v_cndmask_b32_e64 v7, 0, v9, s[6:7]
	v_cndmask_b32_e64 v6, 0, v8, s[6:7]
	v_add_f64 v[29:30], v[27:28], v[18:19]
	v_add_f64 v[4:5], v[14:15], v[29:30]
	v_add_f64 v[20:21], v[29:30], -v[27:28]
	v_add_f64 v[8:9], v[4:5], v[6:7]
	v_add_f64 v[18:19], v[18:19], -v[20:21]
	v_add_f64 v[20:21], v[29:30], -v[20:21]
	;; [unrolled: 1-line block ×3, first 2 shown]
	v_cmp_gt_f64_e64 s[6:7], 0, v[8:9]
	v_add_f64 v[20:21], v[27:28], -v[20:21]
	v_add_f64 v[14:15], v[29:30], -v[14:15]
	buffer_load_dword v29, off, s[0:3], 0 offset:108 ; 4-byte Folded Reload
	buffer_load_dword v30, off, s[0:3], 0 offset:112 ; 4-byte Folded Reload
	v_cndmask_b32_e64 v56, 0, v54, s[6:7]
	v_add_f64 v[6:7], v[6:7], v[55:56]
	v_add_f64 v[18:19], v[18:19], v[20:21]
	v_add_f64 v[20:21], v[27:28], -v[25:26]
	v_add_f64 v[8:9], v[4:5], v[6:7]
	v_add_f64 v[12:13], v[12:13], -v[20:21]
	v_add_f64 v[20:21], v[27:28], -v[20:21]
	v_cvt_i32_f64_e32 v10, v[8:9]
	v_add_f64 v[20:21], v[25:26], -v[20:21]
	v_cvt_f64_i32_e32 v[8:9], v10
	v_add_f64 v[6:7], v[6:7], -v[8:9]
	v_add_f64 v[12:13], v[12:13], v[20:21]
	v_add_f64 v[8:9], v[4:5], v[6:7]
	;; [unrolled: 1-line block ×3, first 2 shown]
	v_add_f64 v[6:7], v[8:9], -v[6:7]
	v_cmp_le_f64_e64 s[6:7], 0.5, v[8:9]
	v_add_f64 v[2:3], v[2:3], v[12:13]
	v_add_f64 v[4:5], v[4:5], -v[6:7]
	v_add_f64 v[2:3], v[14:15], v[2:3]
	v_addc_co_u32_e64 v14, s[8:9], 0, v10, s[6:7]
	v_add_f64 v[2:3], v[2:3], v[4:5]
	v_mov_b32_e32 v4, 0x3ff00000
	v_cndmask_b32_e64 v56, 0, v4, s[6:7]
	v_add_f64 v[4:5], v[8:9], -v[55:56]
	v_mov_b32_e32 v56, 0
	v_add_f64 v[6:7], v[4:5], v[2:3]
	v_add_f64 v[4:5], v[6:7], -v[4:5]
	v_add_f64 v[2:3], v[2:3], -v[4:5]
	v_mul_f64 v[4:5], v[6:7], s[86:87]
	v_fma_f64 v[8:9], v[6:7], s[86:87], -v[4:5]
	v_fma_f64 v[6:7], v[6:7], s[38:39], v[8:9]
	v_fma_f64 v[2:3], v[2:3], s[86:87], v[6:7]
	v_add_f64 v[10:11], v[4:5], v[2:3]
	v_add_f64 v[4:5], v[10:11], -v[4:5]
	v_add_f64 v[12:13], v[2:3], -v[4:5]
.LBB0_103:                              ;   in Loop: Header=BB0_34 Depth=1
	s_andn2_saveexec_b64 s[6:7], s[10:11]
	s_cbranch_execz .LBB0_105
; %bb.104:                              ;   in Loop: Header=BB0_34 Depth=1
	v_mul_f64 v[2:3], |v[0:1]|, s[40:41]
	s_mov_b32 s36, s86
	s_mov_b32 s8, s42
	;; [unrolled: 1-line block ×3, first 2 shown]
	v_rndne_f64_e32 v[2:3], v[2:3]
	v_fma_f64 v[4:5], v[2:3], s[36:37], |v[0:1]|
	v_mul_f64 v[6:7], v[2:3], s[42:43]
	v_cvt_i32_f64_e32 v14, v[2:3]
	v_add_f64 v[8:9], v[4:5], v[6:7]
	v_add_f64 v[10:11], v[4:5], -v[8:9]
	v_fma_f64 v[4:5], v[2:3], s[42:43], v[4:5]
	v_add_f64 v[10:11], v[10:11], v[6:7]
	v_add_f64 v[8:9], v[8:9], -v[4:5]
	v_fma_f64 v[6:7], v[2:3], s[8:9], v[6:7]
	;; [unrolled: 3-line block ×3, first 2 shown]
	v_add_f64 v[10:11], v[4:5], v[6:7]
	v_add_f64 v[4:5], v[10:11], -v[4:5]
	v_add_f64 v[12:13], v[6:7], -v[4:5]
.LBB0_105:                              ;   in Loop: Header=BB0_34 Depth=1
	s_or_b64 exec, exec, s[6:7]
	buffer_load_dword v15, off, s[0:3], 0 offset:116 ; 4-byte Folded Reload
	buffer_load_dword v16, off, s[0:3], 0 offset:120 ; 4-byte Folded Reload
	v_mul_f64 v[2:3], v[10:11], v[10:11]
	s_mov_b32 s56, s94
	v_and_b32_e32 v0, 1, v14
	v_cmp_eq_u32_e64 s[6:7], 0, v0
	v_mul_f64 v[4:5], v[2:3], 0.5
	v_add_f64 v[6:7], -v[4:5], 1.0
	v_add_f64 v[8:9], -v[6:7], 1.0
	v_add_f64 v[4:5], v[8:9], -v[4:5]
	v_mul_f64 v[8:9], v[2:3], v[2:3]
	v_fma_f64 v[4:5], v[10:11], -v[12:13], v[4:5]
	s_waitcnt vmcnt(0)
	v_fma_f64 v[15:16], v[2:3], s[48:49], v[15:16]
	v_fma_f64 v[15:16], v[2:3], v[15:16], s[50:51]
	;; [unrolled: 1-line block ×6, first 2 shown]
	v_mul_f64 v[8:9], v[10:11], -v[2:3]
	v_mul_f64 v[15:16], v[12:13], 0.5
	v_add_f64 v[4:5], v[6:7], v[4:5]
	buffer_load_dword v6, off, s[0:3], 0 offset:124 ; 4-byte Folded Reload
	buffer_load_dword v7, off, s[0:3], 0 offset:128 ; 4-byte Folded Reload
	s_waitcnt vmcnt(0)
	v_fma_f64 v[6:7], v[2:3], s[60:61], v[6:7]
	v_fma_f64 v[6:7], v[2:3], v[6:7], s[62:63]
	;; [unrolled: 1-line block ×5, first 2 shown]
	v_fma_f64 v[2:3], v[2:3], v[6:7], -v[12:13]
	v_fma_f64 v[2:3], v[8:9], s[56:57], v[2:3]
	v_add_f64 v[2:3], v[10:11], -v[2:3]
	v_cndmask_b32_e64 v0, v4, v2, s[6:7]
	v_cndmask_b32_e64 v2, v5, v3, s[6:7]
	v_lshlrev_b32_e32 v3, 30, v14
	v_xor_b32_e32 v1, v3, v1
	v_and_b32_e32 v1, 0x80000000, v1
	v_xor_b32_e32 v1, v2, v1
	v_mov_b32_e32 v2, 0xfff80000
	v_cndmask_b32_e32 v0, 0, v0, vcc
	v_cndmask_b32_e64 v1, v2, -v1, vcc
	buffer_store_dword v0, off, s[0:3], 0 offset:56
	buffer_store_dword v1, off, s[0:3], 0 offset:60
	v_mad_u64_u32 v[0:1], s[6:7], v44, s14, v[17:18]
	v_cndmask_b32_e64 v1, 0, 1, s[4:5]
	v_sub_u32_e32 v0, v0, v1
	v_ashrrev_i32_e32 v1, 31, v0
	v_lshlrev_b64 v[0:1], 5, v[0:1]
	v_add_co_u32_e32 v4, vcc, s22, v0
	v_mov_b32_e32 v0, s23
	v_addc_co_u32_e32 v5, vcc, v0, v1, vcc
	global_load_dwordx4 v[0:3], v[4:5], off offset:16
	s_nop 0
	global_load_dwordx4 v[4:7], v[4:5], off
	s_waitcnt vmcnt(1)
	v_mul_f64 v[0:1], v[61:62], v[0:1]
	s_waitcnt vmcnt(0)
	v_mul_f64 v[47:48], v[61:62], v[4:5]
	v_mul_f64 v[49:50], v[61:62], v[6:7]
	v_cmp_lt_i32_e32 vcc, v2, v3
	s_and_saveexec_b64 s[8:9], vcc
	s_cbranch_execz .LBB0_32
; %bb.106:                              ;   in Loop: Header=BB0_34 Depth=1
	v_mul_lo_u32 v33, v44, s13
	s_mov_b64 s[96:97], 0
	buffer_store_dword v59, off, s[0:3], 0 offset:216 ; 4-byte Folded Spill
	s_nop 0
	buffer_store_dword v60, off, s[0:3], 0 offset:220 ; 4-byte Folded Spill
	buffer_store_dword v57, off, s[0:3], 0 offset:208 ; 4-byte Folded Spill
	s_nop 0
	buffer_store_dword v58, off, s[0:3], 0 offset:212 ; 4-byte Folded Spill
	;; [unrolled: 3-line block ×3, first 2 shown]
	buffer_store_dword v33, off, s[0:3], 0 offset:152 ; 4-byte Folded Spill
	s_branch .LBB0_108
.LBB0_107:                              ;   in Loop: Header=BB0_108 Depth=2
	s_or_b64 exec, exec, s[98:99]
	buffer_load_dword v4, off, s[0:3], 0 offset:104 ; 4-byte Folded Reload
	v_add_u32_e32 v2, 1, v2
	v_cmp_ge_i32_e32 vcc, v2, v3
	s_or_b64 s[96:97], vcc, s[96:97]
	s_waitcnt vmcnt(0)
	v_bfe_i32 v4, v4, 0, 16
	v_lshl_add_u32 v7, v4, 4, v56
	buffer_load_dword v4, v7, s[0:3], 0 offen
	buffer_load_dword v5, v7, s[0:3], 0 offen offset:4
	buffer_load_dword v6, v7, s[0:3], 0 offen offset:8
	s_nop 0
	buffer_load_dword v7, v7, s[0:3], 0 offen offset:12
	s_nop 0
	buffer_load_dword v10, off, s[0:3], 0 offset:88 ; 4-byte Folded Reload
	buffer_load_dword v11, off, s[0:3], 0 offset:92 ; 4-byte Folded Reload
	;; [unrolled: 1-line block ×4, first 2 shown]
	s_waitcnt vmcnt(4)
	v_mul_f64 v[8:9], v[16:17], v[6:7]
	v_mul_f64 v[6:7], v[23:24], v[6:7]
	v_fma_f64 v[8:9], v[23:24], v[4:5], -v[8:9]
	v_fma_f64 v[4:5], v[16:17], v[4:5], v[6:7]
	s_waitcnt vmcnt(0)
	v_mul_f64 v[4:5], v[12:13], v[4:5]
	v_fma_f64 v[4:5], v[10:11], v[8:9], -v[4:5]
	buffer_load_dword v6, off, s[0:3], 0 offset:72 ; 4-byte Folded Reload
	buffer_load_dword v7, off, s[0:3], 0 offset:76 ; 4-byte Folded Reload
	buffer_load_dword v8, off, s[0:3], 0 offset:80 ; 4-byte Folded Reload
	buffer_load_dword v9, off, s[0:3], 0 offset:84 ; 4-byte Folded Reload
	v_add_f64 v[47:48], v[47:48], v[4:5]
	s_waitcnt vmcnt(0)
	v_mul_f64 v[4:5], v[8:9], v[16:17]
	v_fma_f64 v[4:5], v[6:7], v[23:24], -v[4:5]
	v_add_f64 v[49:50], v[49:50], v[4:5]
	v_mul_f64 v[4:5], v[38:39], v[16:17]
	v_fma_f64 v[4:5], v[36:37], v[23:24], -v[4:5]
	v_add_f64 v[0:1], v[0:1], v[4:5]
	s_andn2_b64 exec, exec, s[96:97]
	s_cbranch_execz .LBB0_31
.LBB0_108:                              ;   Parent Loop BB0_34 Depth=1
                                        ; =>  This Loop Header: Depth=2
                                        ;       Child Loop BB0_120 Depth 3
	v_mov_b32_e32 v4, s20
	v_add_u32_e32 v6, v2, v33
	v_mov_b32_e32 v5, s21
	v_mad_i64_i32 v[16:17], s[4:5], v6, s17, v[4:5]
	s_mov_b32 s4, 0
	global_load_dwordx4 v[4:7], v[16:17], off
	global_load_dwordx4 v[8:11], v[16:17], off offset:16
	s_mov_b32 s5, 0x40180000
	s_waitcnt vmcnt(0)
	buffer_store_dword v8, off, s[0:3], 0 offset:88 ; 4-byte Folded Spill
	s_nop 0
	buffer_store_dword v9, off, s[0:3], 0 offset:92 ; 4-byte Folded Spill
	buffer_store_dword v10, off, s[0:3], 0 offset:96 ; 4-byte Folded Spill
	;; [unrolled: 1-line block ×3, first 2 shown]
	v_add_f64 v[6:7], -v[6:7], 0
	v_add_f64 v[4:5], v[61:62], -v[4:5]
	v_mul_f64 v[8:9], v[6:7], 0.5
	v_mul_f64 v[6:7], v[6:7], 0
	v_fma_f64 v[51:52], v[4:5], 0, v[8:9]
	v_fma_f64 v[44:45], v[4:5], 0.5, -v[6:7]
	v_mul_f64 v[18:19], v[51:52], v[51:52]
	v_fma_f64 v[4:5], v[44:45], v[44:45], v[18:19]
	v_cmp_gt_f64_e32 vcc, s[34:35], v[4:5]
	v_cndmask_b32_e32 v6, 0, v40, vcc
	v_ldexp_f64 v[20:21], v[4:5], v6
	global_load_dwordx4 v[36:39], v[16:17], off offset:48
	global_load_dwordx4 v[4:7], v[16:17], off offset:32
	s_waitcnt vmcnt(0)
	buffer_store_dword v4, off, s[0:3], 0 offset:72 ; 4-byte Folded Spill
	s_nop 0
	buffer_store_dword v5, off, s[0:3], 0 offset:76 ; 4-byte Folded Spill
	buffer_store_dword v6, off, s[0:3], 0 offset:80 ; 4-byte Folded Spill
	;; [unrolled: 1-line block ×3, first 2 shown]
	global_load_ushort v4, v[16:17], off offset:64
	v_rsq_f64_e32 v[23:24], v[20:21]
	v_mul_f64 v[16:17], v[20:21], v[23:24]
	v_mul_f64 v[23:24], v[23:24], 0.5
	v_fma_f64 v[25:26], -v[23:24], v[16:17], 0.5
	v_fma_f64 v[16:17], v[16:17], v[25:26], v[16:17]
	v_fma_f64 v[23:24], v[23:24], v[25:26], v[23:24]
	v_fma_f64 v[25:26], -v[16:17], v[16:17], v[20:21]
	v_fma_f64 v[16:17], v[25:26], v[23:24], v[16:17]
	v_fma_f64 v[25:26], -v[16:17], v[16:17], v[20:21]
	v_fma_f64 v[16:17], v[25:26], v[23:24], v[16:17]
	v_mul_f64 v[23:24], v[44:45], v[44:45]
	v_mul_f64 v[25:26], v[44:45], v[51:52]
	v_add_f64 v[57:58], v[23:24], -v[18:19]
	v_add_f64 v[59:60], v[25:26], v[25:26]
                                        ; implicit-def: $vgpr23_vgpr24
	s_waitcnt vmcnt(0)
	buffer_store_dword v4, off, s[0:3], 0 offset:104 ; 4-byte Folded Spill
	v_cndmask_b32_e32 v4, 0, v42, vcc
	v_ldexp_f64 v[16:17], v[16:17], v4
	v_cmp_class_f64_e32 vcc, v[20:21], v43
	v_cndmask_b32_e32 v17, v17, v21, vcc
	v_cndmask_b32_e32 v16, v16, v20, vcc
	v_cmp_ngt_f64_e32 vcc, s[4:5], v[16:17]
                                        ; implicit-def: $vgpr16_vgpr17
	s_and_saveexec_b64 s[4:5], vcc
	s_xor_b64 s[4:5], exec, s[4:5]
	s_cbranch_execz .LBB0_110
; %bb.109:                              ;   in Loop: Header=BB0_108 Depth=2
	v_add_f64 v[4:5], v[57:58], s[68:69]
	v_mul_f64 v[27:28], v[59:60], v[59:60]
	v_mul_f64 v[20:21], v[59:60], 0
	v_fma_f64 v[18:19], v[44:45], 0, -v[51:52]
	v_fma_f64 v[16:17], v[51:52], 0, v[44:45]
                                        ; implicit-def: $vgpr51_vgpr52
                                        ; implicit-def: $vgpr44_vgpr45
	v_fma_f64 v[6:7], v[4:5], v[4:5], v[27:28]
	v_fma_f64 v[8:9], v[4:5], s[70:71], v[20:21]
	v_div_scale_f64 v[10:11], s[6:7], v[6:7], v[6:7], v[8:9]
	v_rcp_f64_e32 v[12:13], v[10:11]
	v_fma_f64 v[14:15], -v[10:11], v[12:13], 1.0
	v_fma_f64 v[12:13], v[12:13], v[14:15], v[12:13]
	v_fma_f64 v[14:15], -v[10:11], v[12:13], 1.0
	v_fma_f64 v[12:13], v[12:13], v[14:15], v[12:13]
	v_div_scale_f64 v[14:15], vcc, v[8:9], v[6:7], v[8:9]
	v_mul_f64 v[22:23], v[14:15], v[12:13]
	v_fma_f64 v[10:11], -v[10:11], v[22:23], v[14:15]
	s_nop 1
	v_div_fmas_f64 v[10:11], v[10:11], v[12:13], v[22:23]
	v_div_fixup_f64 v[23:24], v[10:11], v[6:7], v[8:9]
	v_mul_f64 v[8:9], v[59:60], s[70:71]
	v_fma_f64 v[4:5], v[4:5], 0, -v[8:9]
	v_div_scale_f64 v[8:9], s[6:7], v[6:7], v[6:7], v[4:5]
	v_rcp_f64_e32 v[10:11], v[8:9]
	v_fma_f64 v[12:13], -v[8:9], v[10:11], 1.0
	v_fma_f64 v[10:11], v[10:11], v[12:13], v[10:11]
	v_fma_f64 v[12:13], -v[8:9], v[10:11], 1.0
	v_fma_f64 v[10:11], v[10:11], v[12:13], v[10:11]
	v_div_scale_f64 v[12:13], vcc, v[4:5], v[6:7], v[4:5]
	v_mul_f64 v[14:15], v[12:13], v[10:11]
	v_fma_f64 v[8:9], -v[8:9], v[14:15], v[12:13]
	s_nop 1
	v_div_fmas_f64 v[8:9], v[8:9], v[10:11], v[14:15]
	v_div_fixup_f64 v[25:26], v[8:9], v[6:7], v[4:5]
	v_add_f64 v[4:5], v[57:58], s[72:73]
                                        ; implicit-def: $vgpr57_vgpr58
	v_fma_f64 v[30:31], v[4:5], v[4:5], v[27:28]
	v_fma_f64 v[6:7], v[4:5], s[74:75], v[20:21]
	v_div_scale_f64 v[8:9], s[6:7], v[30:31], v[30:31], v[6:7]
	v_rcp_f64_e32 v[10:11], v[8:9]
	v_fma_f64 v[12:13], -v[8:9], v[10:11], 1.0
	v_fma_f64 v[10:11], v[10:11], v[12:13], v[10:11]
	v_fma_f64 v[12:13], -v[8:9], v[10:11], 1.0
	v_fma_f64 v[10:11], v[10:11], v[12:13], v[10:11]
	v_div_scale_f64 v[12:13], vcc, v[6:7], v[30:31], v[6:7]
	v_mul_f64 v[14:15], v[12:13], v[10:11]
	v_fma_f64 v[8:9], -v[8:9], v[14:15], v[12:13]
	s_nop 1
	v_div_fmas_f64 v[8:9], v[8:9], v[10:11], v[14:15]
	v_div_fixup_f64 v[34:35], v[8:9], v[30:31], v[6:7]
	v_mul_f64 v[6:7], v[59:60], s[74:75]
                                        ; implicit-def: $vgpr59_vgpr60
	v_fma_f64 v[27:28], v[4:5], 0, -v[6:7]
	v_div_scale_f64 v[4:5], s[6:7], v[30:31], v[30:31], v[27:28]
	v_rcp_f64_e32 v[6:7], v[4:5]
	v_fma_f64 v[8:9], -v[4:5], v[6:7], 1.0
	v_fma_f64 v[6:7], v[6:7], v[8:9], v[6:7]
	v_fma_f64 v[8:9], -v[4:5], v[6:7], 1.0
	v_fma_f64 v[6:7], v[6:7], v[8:9], v[6:7]
	v_div_scale_f64 v[8:9], vcc, v[27:28], v[30:31], v[27:28]
	v_mul_f64 v[10:11], v[8:9], v[6:7]
	v_fma_f64 v[4:5], -v[4:5], v[10:11], v[8:9]
	s_nop 1
	v_div_fmas_f64 v[4:5], v[4:5], v[6:7], v[10:11]
	v_add_f64 v[6:7], v[23:24], v[34:35]
	v_div_fixup_f64 v[4:5], v[4:5], v[30:31], v[27:28]
	buffer_load_dword v29, off, s[0:3], 0 offset:108 ; 4-byte Folded Reload
	buffer_load_dword v30, off, s[0:3], 0 offset:112 ; 4-byte Folded Reload
	buffer_load_dword v31, off, s[0:3], 0 offset:64 ; 4-byte Folded Reload
	buffer_load_dword v32, off, s[0:3], 0 offset:68 ; 4-byte Folded Reload
	v_add_f64 v[4:5], v[25:26], v[4:5]
	v_mul_f64 v[8:9], v[16:17], v[4:5]
	v_mul_f64 v[4:5], v[18:19], v[4:5]
	v_fma_f64 v[23:24], v[18:19], v[6:7], -v[8:9]
	v_fma_f64 v[16:17], v[16:17], v[6:7], v[4:5]
.LBB0_110:                              ;   in Loop: Header=BB0_108 Depth=2
	s_andn2_saveexec_b64 s[98:99], s[4:5]
	s_cbranch_execz .LBB0_107
; %bb.111:                              ;   in Loop: Header=BB0_108 Depth=2
	v_mul_f64 v[4:5], v[51:52], 0
	v_mov_b32_e32 v12, v55
	buffer_store_dword v36, off, s[0:3], 0 offset:132 ; 4-byte Folded Spill
	s_nop 0
	buffer_store_dword v37, off, s[0:3], 0 offset:136 ; 4-byte Folded Spill
	buffer_store_dword v38, off, s[0:3], 0 offset:140 ; 4-byte Folded Spill
	;; [unrolled: 1-line block ×3, first 2 shown]
                                        ; implicit-def: $vgpr38_vgpr39
                                        ; implicit-def: $vgpr40_vgpr41
	v_fma_f64 v[55:56], v[44:45], s[90:91], v[4:5]
                                        ; implicit-def: $vgpr4
                                        ; kill: killed $vgpr4
	s_waitcnt vmcnt(5)
	v_trig_preop_f64 v[30:31], |v[55:56]|, 0
	v_trig_preop_f64 v[42:43], |v[55:56]|, 1
	;; [unrolled: 1-line block ×3, first 2 shown]
	v_cmp_lt_f64_e64 vcc, |v[55:56]|, s[80:81]
	v_cmp_nlt_f64_e64 s[10:11], |v[55:56]|, s[80:81]
	v_ldexp_f64 v[24:25], |v[55:56]|, s12
	v_and_b32_e32 v11, 0x7fffffff, v56
	s_and_saveexec_b64 s[4:5], s[10:11]
	s_xor_b64 s[30:31], exec, s[4:5]
	s_cbranch_execz .LBB0_113
; %bb.112:                              ;   in Loop: Header=BB0_108 Depth=2
	v_trig_preop_f64 v[16:17], |v[55:56]|, 0
	v_cmp_ge_f64_e64 s[4:5], |v[55:56]|, s[82:83]
	v_ldexp_f64 v[26:27], |v[55:56]|, s12
	v_trig_preop_f64 v[20:21], |v[55:56]|, 1
	v_mov_b32_e32 v9, v12
	v_cndmask_b32_e64 v29, v11, v27, s[4:5]
	v_cndmask_b32_e64 v28, v55, v26, s[4:5]
	v_mul_f64 v[34:35], v[16:17], v[28:29]
	v_mul_f64 v[26:27], v[20:21], v[28:29]
	v_fma_f64 v[37:38], v[16:17], v[28:29], -v[34:35]
	v_fma_f64 v[20:21], v[20:21], v[28:29], -v[26:27]
	v_add_f64 v[39:40], v[26:27], v[37:38]
	v_add_f64 v[61:62], v[39:40], -v[26:27]
	v_add_f64 v[53:54], v[34:35], v[39:40]
	v_add_f64 v[37:38], v[37:38], -v[61:62]
	v_add_f64 v[61:62], v[39:40], -v[61:62]
	v_ldexp_f64 v[16:17], v[53:54], -2
	v_add_f64 v[61:62], v[26:27], -v[61:62]
	v_add_f64 v[26:27], v[53:54], -v[34:35]
	s_waitcnt vmcnt(4)
	v_fract_f64_e32 v[32:33], v[16:17]
	v_cmp_neq_f64_e64 s[4:5], |v[16:17]|, s[84:85]
	v_mov_b32_e32 v54, 0x40100000
	v_add_f64 v[37:38], v[37:38], v[61:62]
	v_trig_preop_f64 v[61:62], |v[55:56]|, 2
	v_add_f64 v[34:35], v[39:40], -v[26:27]
	v_mul_f64 v[22:23], v[61:62], v[28:29]
	v_add_f64 v[4:5], v[22:23], v[20:21]
	v_add_f64 v[6:7], v[4:5], v[37:38]
	;; [unrolled: 1-line block ×3, first 2 shown]
	v_add_f64 v[39:40], v[6:7], -v[4:5]
	v_add_f64 v[34:35], v[26:27], -v[34:35]
	;; [unrolled: 1-line block ×6, first 2 shown]
	v_add_f64 v[6:7], v[37:38], v[6:7]
	v_add_f64 v[37:38], v[4:5], -v[22:23]
	v_add_f64 v[4:5], v[4:5], -v[37:38]
	;; [unrolled: 1-line block ×4, first 2 shown]
	v_add_f64 v[4:5], v[20:21], v[4:5]
	v_add_f64 v[4:5], v[4:5], v[6:7]
	v_fma_f64 v[6:7], v[61:62], v[28:29], -v[22:23]
	v_add_f64 v[4:5], v[6:7], v[4:5]
	v_add_f64 v[28:29], v[34:35], v[4:5]
	v_ldexp_f64 v[4:5], v[32:33], 2
	v_cndmask_b32_e64 v5, 0, v5, s[4:5]
	v_cndmask_b32_e64 v4, 0, v4, s[4:5]
	v_add_f64 v[6:7], v[26:27], v[4:5]
	v_cmp_gt_f64_e64 s[4:5], 0, v[6:7]
	v_cndmask_b32_e64 v10, 0, v54, s[4:5]
	v_add_f64 v[4:5], v[4:5], v[9:10]
	v_add_f64 v[6:7], v[26:27], v[4:5]
	v_cvt_i32_f64_e32 v8, v[6:7]
	v_cvt_f64_i32_e32 v[6:7], v8
	v_add_f64 v[4:5], v[4:5], -v[6:7]
	v_add_f64 v[6:7], v[26:27], v[4:5]
	v_add_f64 v[4:5], v[6:7], -v[4:5]
	v_cmp_le_f64_e64 s[4:5], 0.5, v[6:7]
	v_add_f64 v[4:5], v[26:27], -v[4:5]
	v_addc_co_u32_e64 v8, s[6:7], 0, v8, s[4:5]
	buffer_store_dword v8, off, s[0:3], 0 offset:148 ; 4-byte Folded Spill
	v_mov_b32_e32 v8, 0x3ff00000
	v_cndmask_b32_e64 v10, 0, v8, s[4:5]
	v_add_f64 v[6:7], v[6:7], -v[9:10]
	v_add_f64 v[4:5], v[28:29], v[4:5]
	v_add_f64 v[16:17], v[6:7], v[4:5]
	v_add_f64 v[6:7], v[16:17], -v[6:7]
	v_add_f64 v[4:5], v[4:5], -v[6:7]
	v_mul_f64 v[6:7], v[16:17], s[86:87]
	v_fma_f64 v[20:21], v[16:17], s[86:87], -v[6:7]
	v_fma_f64 v[16:17], v[16:17], s[38:39], v[20:21]
	v_fma_f64 v[4:5], v[4:5], s[86:87], v[16:17]
	v_add_f64 v[38:39], v[6:7], v[4:5]
	v_add_f64 v[6:7], v[38:39], -v[6:7]
	v_add_f64 v[40:41], v[4:5], -v[6:7]
	s_andn2_saveexec_b64 s[4:5], s[30:31]
	s_cbranch_execz .LBB0_115
	s_branch .LBB0_114
.LBB0_113:                              ;   in Loop: Header=BB0_108 Depth=2
	s_andn2_saveexec_b64 s[4:5], s[30:31]
	s_cbranch_execz .LBB0_115
.LBB0_114:                              ;   in Loop: Header=BB0_108 Depth=2
	v_mul_f64 v[16:17], |v[55:56]|, s[40:41]
	s_mov_b32 s36, s86
	s_mov_b32 s6, s42
	;; [unrolled: 1-line block ×3, first 2 shown]
	v_rndne_f64_e32 v[16:17], v[16:17]
	v_fma_f64 v[20:21], v[16:17], s[36:37], |v[55:56]|
	v_mul_f64 v[26:27], v[16:17], s[42:43]
	v_cvt_i32_f64_e32 v4, v[16:17]
	buffer_store_dword v4, off, s[0:3], 0 offset:148 ; 4-byte Folded Spill
	v_add_f64 v[28:29], v[20:21], v[26:27]
	s_waitcnt vmcnt(5)
	v_add_f64 v[32:33], v[20:21], -v[28:29]
	v_fma_f64 v[20:21], v[16:17], s[42:43], v[20:21]
	v_add_f64 v[32:33], v[32:33], v[26:27]
	v_add_f64 v[28:29], v[28:29], -v[20:21]
	v_fma_f64 v[26:27], v[16:17], s[6:7], v[26:27]
	v_add_f64 v[28:29], v[28:29], v[32:33]
	;; [unrolled: 3-line block ×3, first 2 shown]
	v_add_f64 v[20:21], v[38:39], -v[20:21]
	v_add_f64 v[40:41], v[26:27], -v[20:21]
.LBB0_115:                              ;   in Loop: Header=BB0_108 Depth=2
	s_or_b64 exec, exec, s[4:5]
                                        ; implicit-def: $vgpr46
                                        ; implicit-def: $vgpr34_vgpr35
                                        ; implicit-def: $vgpr26_vgpr27
                                        ; implicit-def: $vgpr61_vgpr62
                                        ; implicit-def: $vgpr16_vgpr17
                                        ; implicit-def: $vgpr20
	s_and_saveexec_b64 s[4:5], s[10:11]
	s_xor_b64 s[10:11], exec, s[4:5]
	s_cbranch_execz .LBB0_117
; %bb.116:                              ;   in Loop: Header=BB0_108 Depth=2
	v_trig_preop_f64 v[30:31], |v[55:56]|, 0
	v_cmp_ge_f64_e64 s[4:5], |v[55:56]|, s[82:83]
	v_ldexp_f64 v[24:25], |v[55:56]|, s12
	v_trig_preop_f64 v[42:43], |v[55:56]|, 1
	v_mov_b32_e32 v9, v12
	s_mov_b32 s36, s86
	v_cndmask_b32_e64 v5, v11, v25, s[4:5]
	v_cndmask_b32_e64 v4, v55, v24, s[4:5]
	v_mul_f64 v[20:21], v[30:31], v[4:5]
	v_mul_f64 v[6:7], v[42:43], v[4:5]
	v_fma_f64 v[18:19], v[30:31], v[4:5], -v[20:21]
	v_add_f64 v[22:23], v[6:7], v[18:19]
	s_waitcnt vmcnt(4)
	v_add_f64 v[32:33], v[22:23], -v[6:7]
	v_add_f64 v[26:27], v[20:21], v[22:23]
	v_add_f64 v[18:19], v[18:19], -v[32:33]
	v_add_f64 v[32:33], v[22:23], -v[32:33]
	;; [unrolled: 1-line block ×3, first 2 shown]
	v_ldexp_f64 v[16:17], v[26:27], -2
	v_add_f64 v[32:33], v[6:7], -v[32:33]
	v_fma_f64 v[6:7], v[42:43], v[4:5], -v[6:7]
	v_add_f64 v[20:21], v[22:23], -v[20:21]
	v_fract_f64_e32 v[28:29], v[16:17]
	v_cmp_neq_f64_e64 s[4:5], |v[16:17]|, s[84:85]
	v_add_f64 v[32:33], v[18:19], v[32:33]
	v_trig_preop_f64 v[18:19], |v[55:56]|, 2
	v_mul_f64 v[34:35], v[18:19], v[4:5]
	v_add_f64 v[61:62], v[34:35], v[6:7]
	v_fma_f64 v[4:5], v[18:19], v[4:5], -v[34:35]
	v_add_f64 v[36:37], v[61:62], v[32:33]
	v_add_f64 v[22:23], v[36:37], -v[61:62]
	v_add_f64 v[26:27], v[20:21], v[36:37]
	v_add_f64 v[32:33], v[32:33], -v[22:23]
	v_add_f64 v[22:23], v[36:37], -v[22:23]
	;; [unrolled: 1-line block ×5, first 2 shown]
	v_add_f64 v[22:23], v[32:33], v[22:23]
	v_add_f64 v[32:33], v[61:62], -v[34:35]
	v_add_f64 v[6:7], v[6:7], -v[32:33]
	;; [unrolled: 1-line block ×4, first 2 shown]
	v_add_f64 v[6:7], v[6:7], v[32:33]
	v_add_f64 v[6:7], v[6:7], v[22:23]
	;; [unrolled: 1-line block ×4, first 2 shown]
	v_ldexp_f64 v[4:5], v[28:29], 2
	v_cndmask_b32_e64 v5, 0, v5, s[4:5]
	v_cndmask_b32_e64 v4, 0, v4, s[4:5]
	v_add_f64 v[6:7], v[26:27], v[4:5]
	v_cmp_gt_f64_e64 s[4:5], 0, v[6:7]
	v_cndmask_b32_e64 v10, 0, v54, s[4:5]
	v_add_f64 v[4:5], v[4:5], v[9:10]
	v_add_f64 v[6:7], v[26:27], v[4:5]
	v_cvt_i32_f64_e32 v8, v[6:7]
	v_cvt_f64_i32_e32 v[6:7], v8
	v_add_f64 v[4:5], v[4:5], -v[6:7]
	v_add_f64 v[6:7], v[26:27], v[4:5]
	v_add_f64 v[4:5], v[6:7], -v[4:5]
	v_cmp_le_f64_e64 s[4:5], 0.5, v[6:7]
	v_add_f64 v[4:5], v[26:27], -v[4:5]
	v_addc_co_u32_e64 v46, s[6:7], 0, v8, s[4:5]
	v_mov_b32_e32 v8, 0x3ff00000
	v_cndmask_b32_e64 v10, 0, v8, s[4:5]
	v_add_f64 v[6:7], v[6:7], -v[9:10]
	s_mov_b32 s4, s42
	s_mov_b32 s5, s39
	v_add_f64 v[4:5], v[20:21], v[4:5]
	v_add_f64 v[16:17], v[6:7], v[4:5]
	v_add_f64 v[6:7], v[16:17], -v[6:7]
	v_add_f64 v[4:5], v[4:5], -v[6:7]
	v_mul_f64 v[6:7], v[16:17], s[86:87]
	v_fma_f64 v[20:21], v[16:17], s[86:87], -v[6:7]
	v_fma_f64 v[16:17], v[16:17], s[38:39], v[20:21]
	v_fma_f64 v[4:5], v[4:5], s[86:87], v[16:17]
	v_add_f64 v[34:35], v[6:7], v[4:5]
	v_add_f64 v[6:7], v[34:35], -v[6:7]
	v_add_f64 v[26:27], v[4:5], -v[6:7]
	v_mul_f64 v[4:5], |v[55:56]|, s[40:41]
	v_rndne_f64_e32 v[28:29], v[4:5]
	v_fma_f64 v[4:5], v[28:29], s[36:37], |v[55:56]|
	v_mul_f64 v[16:17], v[28:29], s[42:43]
	v_fma_f64 v[6:7], v[28:29], s[42:43], v[4:5]
	v_add_f64 v[22:23], v[4:5], v[16:17]
	v_fma_f64 v[20:21], v[28:29], s[4:5], v[16:17]
	v_add_f64 v[4:5], v[4:5], -v[22:23]
	v_add_f64 v[4:5], v[4:5], v[16:17]
	v_add_f64 v[16:17], v[22:23], -v[6:7]
	v_add_f64 v[4:5], v[16:17], v[4:5]
	v_add_f64 v[4:5], v[4:5], -v[20:21]
	v_cvt_i32_f64_e32 v20, v[28:29]
	v_fma_f64 v[4:5], v[28:29], s[44:45], v[4:5]
	v_add_f64 v[61:62], v[6:7], v[4:5]
	v_add_f64 v[6:7], v[61:62], -v[6:7]
	v_add_f64 v[16:17], v[4:5], -v[6:7]
	s_andn2_saveexec_b64 s[4:5], s[10:11]
	s_cbranch_execnz .LBB0_118
	s_branch .LBB0_119
.LBB0_117:                              ;   in Loop: Header=BB0_108 Depth=2
	s_andn2_saveexec_b64 s[4:5], s[10:11]
	s_cbranch_execz .LBB0_119
.LBB0_118:                              ;   in Loop: Header=BB0_108 Depth=2
	v_mul_f64 v[4:5], |v[55:56]|, s[40:41]
	s_mov_b32 s36, s86
	s_mov_b32 s6, s42
	;; [unrolled: 1-line block ×3, first 2 shown]
	v_rndne_f64_e32 v[4:5], v[4:5]
	v_fma_f64 v[6:7], v[4:5], s[36:37], |v[55:56]|
	v_mul_f64 v[16:17], v[4:5], s[42:43]
	v_fma_f64 v[22:23], v[4:5], s[42:43], v[6:7]
	v_add_f64 v[20:21], v[6:7], v[16:17]
	v_add_f64 v[6:7], v[6:7], -v[20:21]
	v_add_f64 v[20:21], v[20:21], -v[22:23]
	v_add_f64 v[6:7], v[6:7], v[16:17]
	v_fma_f64 v[16:17], v[4:5], s[6:7], v[16:17]
	v_add_f64 v[6:7], v[20:21], v[6:7]
	v_cvt_i32_f64_e32 v20, v[4:5]
	v_mov_b32_e32 v46, v20
	v_add_f64 v[6:7], v[6:7], -v[16:17]
	v_fma_f64 v[6:7], v[4:5], s[44:45], v[6:7]
	v_add_f64 v[61:62], v[22:23], v[6:7]
	v_add_f64 v[16:17], v[61:62], -v[22:23]
	v_mov_b32_e32 v34, v61
	v_mov_b32_e32 v35, v62
	v_add_f64 v[16:17], v[6:7], -v[16:17]
	v_mov_b32_e32 v27, v17
	v_mov_b32_e32 v26, v16
.LBB0_119:                              ;   in Loop: Header=BB0_108 Depth=2
	s_or_b64 exec, exec, s[4:5]
	v_cmp_ge_f64_e64 s[4:5], |v[55:56]|, s[82:83]
	s_mov_b32 s56, s94
	v_cndmask_b32_e64 v5, v11, v25, s[4:5]
	v_cndmask_b32_e64 v4, v55, v24, s[4:5]
	v_mul_f64 v[6:7], v[4:5], v[30:31]
	v_mul_f64 v[21:22], v[42:43], v[4:5]
	v_mul_f64 v[36:37], v[18:19], v[4:5]
	v_fma_f64 v[23:24], v[30:31], v[4:5], -v[6:7]
	v_fma_f64 v[42:43], v[42:43], v[4:5], -v[21:22]
	;; [unrolled: 1-line block ×3, first 2 shown]
	v_add_f64 v[28:29], v[21:22], v[23:24]
	v_add_f64 v[30:31], v[28:29], -v[21:22]
	v_add_f64 v[8:9], v[6:7], v[28:29]
	s_waitcnt vmcnt(4)
	v_add_f64 v[32:33], v[28:29], -v[30:31]
	v_add_f64 v[10:11], v[23:24], -v[30:31]
	v_ldexp_f64 v[30:31], v[8:9], -2
	v_add_f64 v[23:24], v[36:37], v[42:43]
	v_add_f64 v[6:7], v[8:9], -v[6:7]
	v_add_f64 v[21:22], v[21:22], -v[32:33]
	v_cmp_neq_f64_e64 s[4:5], |v[30:31]|, s[84:85]
	v_add_f64 v[6:7], v[28:29], -v[6:7]
	v_add_f64 v[8:9], v[10:11], v[21:22]
	v_fract_f64_e32 v[10:11], v[30:31]
	v_add_f64 v[28:29], v[23:24], v[8:9]
	v_ldexp_f64 v[10:11], v[10:11], 2
	v_add_f64 v[30:31], v[6:7], v[28:29]
	v_cndmask_b32_e64 v11, 0, v11, s[4:5]
	v_cndmask_b32_e64 v10, 0, v10, s[4:5]
	v_add_f64 v[32:33], v[28:29], -v[23:24]
	v_add_f64 v[21:22], v[30:31], v[10:11]
	v_add_f64 v[6:7], v[30:31], -v[6:7]
	v_add_f64 v[8:9], v[8:9], -v[32:33]
	v_cmp_gt_f64_e64 s[4:5], 0, v[21:22]
	v_add_f64 v[21:22], v[23:24], -v[36:37]
	v_add_f64 v[6:7], v[28:29], -v[6:7]
	v_cndmask_b32_e64 v13, 0, v54, s[4:5]
	v_add_f64 v[10:11], v[10:11], v[12:13]
	v_add_f64 v[53:54], v[23:24], -v[21:22]
	v_add_f64 v[14:15], v[42:43], -v[21:22]
	;; [unrolled: 1-line block ×3, first 2 shown]
	s_mov_b32 s4, 0
	s_mov_b32 s5, 0x3f300000
	v_add_f64 v[42:43], v[30:31], v[10:11]
	v_add_f64 v[53:54], v[36:37], -v[53:54]
	v_add_f64 v[22:23], v[23:24], -v[21:22]
	v_cvt_i32_f64_e32 v21, v[42:43]
	v_add_f64 v[13:14], v[14:15], v[53:54]
	v_mul_f64 v[42:43], v[51:52], s[90:91]
	v_add_f64 v[8:9], v[8:9], v[22:23]
	v_cvt_f64_i32_e32 v[24:25], v21
	v_mov_b32_e32 v53, v12
	v_add_f64 v[10:11], v[10:11], -v[24:25]
	v_add_f64 v[8:9], v[13:14], v[8:9]
	v_add_f64 v[14:15], v[30:31], v[10:11]
	;; [unrolled: 1-line block ×3, first 2 shown]
	v_add_f64 v[8:9], v[14:15], -v[10:11]
	v_cmp_le_f64_e64 s[6:7], 0.5, v[14:15]
	v_fma_f64 v[10:11], v[44:45], 0, -v[42:43]
	v_add_f64 v[4:5], v[6:7], v[4:5]
	v_add_f64 v[6:7], v[30:31], -v[8:9]
	v_mov_b32_e32 v8, 0x3ff00000
	v_cndmask_b32_e64 v13, 0, v8, s[6:7]
	v_add_f64 v[8:9], v[14:15], -v[12:13]
	v_fma_f64 v[10:11], v[10:11], s[4:5], 1.0
	v_cmp_class_f64_e64 s[4:5], v[55:56], s16
	v_add_f64 v[4:5], v[4:5], v[6:7]
	v_mul_f64 v[10:11], v[10:11], v[10:11]
	v_add_f64 v[6:7], v[8:9], v[4:5]
	v_mul_f64 v[12:13], v[6:7], s[86:87]
	v_add_f64 v[8:9], v[6:7], -v[8:9]
	v_fma_f64 v[14:15], v[6:7], s[86:87], -v[12:13]
	v_add_f64 v[4:5], v[4:5], -v[8:9]
	v_mul_f64 v[8:9], v[10:11], v[10:11]
	v_fma_f64 v[6:7], v[6:7], s[38:39], v[14:15]
	buffer_load_dword v14, off, s[0:3], 0 offset:124 ; 4-byte Folded Reload
	buffer_load_dword v15, off, s[0:3], 0 offset:128 ; 4-byte Folded Reload
	v_fma_f64 v[4:5], v[4:5], s[86:87], v[6:7]
	v_mul_f64 v[6:7], v[8:9], v[8:9]
	v_add_f64 v[8:9], v[12:13], v[4:5]
	v_mul_f64 v[6:7], v[6:7], v[6:7]
	v_cndmask_b32_e32 v19, v9, v62, vcc
	v_cndmask_b32_e32 v18, v8, v61, vcc
	v_add_f64 v[8:9], v[8:9], -v[12:13]
	buffer_load_dword v12, off, s[0:3], 0 offset:116 ; 4-byte Folded Reload
	buffer_load_dword v13, off, s[0:3], 0 offset:120 ; 4-byte Folded Reload
	v_mul_f64 v[10:11], v[18:19], v[18:19]
	v_mul_f64 v[6:7], v[6:7], v[6:7]
	v_add_f64 v[4:5], v[4:5], -v[8:9]
	v_mul_f64 v[22:23], v[10:11], 0.5
	v_mul_f64 v[6:7], v[6:7], v[6:7]
	v_mul_f64 v[24:25], v[18:19], -v[10:11]
	v_cndmask_b32_e32 v5, v5, v17, vcc
	v_cndmask_b32_e32 v4, v4, v16, vcc
	v_mul_f64 v[16:17], v[4:5], 0.5
	v_mul_f64 v[6:7], v[6:7], v[6:7]
	v_mul_f64 v[6:7], v[6:7], v[6:7]
	;; [unrolled: 1-line block ×5, first 2 shown]
	s_waitcnt vmcnt(2)
	v_fma_f64 v[14:15], v[10:11], s[60:61], v[14:15]
	v_mul_f64 v[30:31], v[6:7], v[6:7]
	v_fma_f64 v[14:15], v[10:11], v[14:15], s[62:63]
	v_fma_f64 v[14:15], v[10:11], v[14:15], s[64:65]
	;; [unrolled: 1-line block ×3, first 2 shown]
	s_waitcnt vmcnt(0)
	v_fma_f64 v[12:13], v[10:11], s[48:49], v[12:13]
	v_fma_f64 v[14:15], v[24:25], v[14:15], v[16:17]
	v_mul_f64 v[16:17], v[59:60], s[92:93]
	v_fma_f64 v[8:9], v[10:11], v[12:13], s[50:51]
	v_add_f64 v[12:13], -v[22:23], 1.0
	v_fma_f64 v[8:9], v[10:11], v[8:9], s[52:53]
	v_add_f64 v[28:29], -v[12:13], 1.0
	v_fma_f64 v[8:9], v[10:11], v[8:9], s[54:55]
	v_add_f64 v[22:23], v[28:29], -v[22:23]
	v_mul_f64 v[28:29], v[10:11], v[10:11]
	v_fma_f64 v[8:9], v[10:11], v[8:9], s[94:95]
	v_fma_f64 v[22:23], v[18:19], -v[4:5], v[22:23]
	v_fma_f64 v[4:5], v[10:11], v[14:15], -v[4:5]
	v_fma_f64 v[10:11], v[57:58], 0, v[16:17]
	v_mul_f64 v[14:15], v[59:60], 0
	v_fma_f64 v[8:9], v[28:29], v[8:9], v[22:23]
	v_fma_f64 v[4:5], v[24:25], s[56:57], v[4:5]
	v_add_f64 v[59:60], -v[10:11], 0
	v_addc_co_u32_e64 v10, s[6:7], 0, v21, s[6:7]
	v_fma_f64 v[57:58], v[57:58], s[92:93], -v[14:15]
	v_mov_b32_e32 v23, 0
	v_mov_b32_e32 v24, 0
	v_add_f64 v[6:7], v[12:13], v[8:9]
	v_add_f64 v[4:5], v[18:19], -v[4:5]
	v_cndmask_b32_e32 v8, v10, v20, vcc
	v_and_b32_e32 v9, 1, v8
	v_lshlrev_b32_e32 v8, 30, v8
	v_cmp_eq_u32_e32 vcc, 0, v9
	v_xor_b32_e32 v9, v8, v56
	v_and_b32_e32 v12, 0x80000000, v8
	v_and_b32_e32 v8, 0x80000000, v9
	v_cndmask_b32_e32 v10, v7, v5, vcc
	v_cndmask_b32_e32 v9, v6, v4, vcc
	v_xor_b32_e32 v10, v10, v8
	v_mov_b32_e32 v13, 0x7ff80000
	v_cndmask_b32_e64 v8, 0, v9, s[4:5]
	v_cndmask_b32_e64 v9, v13, v10, s[4:5]
	v_mul_f64 v[10:11], v[30:31], v[8:9]
	v_mul_f64 v[8:9], v[8:9], 0
	v_xor_b32_e32 v5, 0x80000000, v5
	v_cndmask_b32_e32 v5, v5, v7, vcc
	v_cndmask_b32_e32 v4, v4, v6, vcc
	v_xor_b32_e32 v5, v5, v12
	v_cndmask_b32_e64 v4, 0, v4, s[4:5]
	v_cndmask_b32_e64 v5, v13, v5, s[4:5]
	v_fma_f64 v[16:17], v[4:5], 0, v[10:11]
	v_fma_f64 v[61:62], v[30:31], v[4:5], -v[8:9]
	v_mov_b32_e32 v18, 0
	v_mov_b32_e32 v19, 0
	s_mov_b64 s[6:7], 0
.LBB0_120:                              ;   Parent Loop BB0_34 Depth=1
                                        ;     Parent Loop BB0_108 Depth=2
                                        ; =>    This Inner Loop Header: Depth=3
	s_getpc_b64 s[10:11]
	s_add_u32 s10, s10, __const._Z14fast_nuclear_W9RSComplex.neg_1n@rel32@lo+4
	s_addc_u32 s11, s11, __const._Z14fast_nuclear_W9RSComplex.neg_1n@rel32@hi+12
	v_mul_f64 v[4:5], v[16:17], 0
	v_mul_f64 v[6:7], v[61:62], 0
	s_add_u32 s10, s10, s6
	s_addc_u32 s11, s11, s7
	s_load_dwordx2 s[10:11], s[10:11], 0x0
	s_waitcnt lgkmcnt(0)
	v_fma_f64 v[4:5], v[61:62], s[10:11], -v[4:5]
	v_fma_f64 v[32:33], v[16:17], s[10:11], v[6:7]
	s_getpc_b64 s[10:11]
	s_add_u32 s10, s10, __const._Z14fast_nuclear_W9RSComplex.denominator_left@rel32@lo+4
	s_addc_u32 s11, s11, __const._Z14fast_nuclear_W9RSComplex.denominator_left@rel32@hi+12
	s_add_u32 s10, s10, s6
	s_addc_u32 s11, s11, s7
	s_load_dwordx2 s[10:11], s[10:11], 0x0
	v_mul_f64 v[6:7], v[59:60], v[59:60]
	v_add_f64 v[20:21], v[4:5], -1.0
	s_waitcnt lgkmcnt(0)
	v_add_f64 v[4:5], s[10:11], -v[57:58]
	s_getpc_b64 s[10:11]
	s_add_u32 s10, s10, __const._Z14fast_nuclear_W9RSComplex.an@rel32@lo+4
	s_addc_u32 s11, s11, __const._Z14fast_nuclear_W9RSComplex.an@rel32@hi+12
	s_add_u32 s10, s10, s6
	s_addc_u32 s11, s11, s7
	s_load_dwordx2 s[10:11], s[10:11], 0x0
	s_add_u32 s6, s6, 8
	s_addc_u32 s7, s7, 0
	s_cmpk_eq_i32 s6, 0x50
	v_fma_f64 v[36:37], v[4:5], v[4:5], v[6:7]
	v_mul_f64 v[6:7], v[4:5], v[20:21]
	v_fma_f64 v[6:7], v[59:60], v[32:33], v[6:7]
	v_div_scale_f64 v[8:9], s[30:31], v[36:37], v[36:37], v[6:7]
	v_rcp_f64_e32 v[10:11], v[8:9]
	v_fma_f64 v[12:13], -v[8:9], v[10:11], 1.0
	v_fma_f64 v[10:11], v[10:11], v[12:13], v[10:11]
	v_fma_f64 v[12:13], -v[8:9], v[10:11], 1.0
	v_fma_f64 v[10:11], v[10:11], v[12:13], v[10:11]
	v_div_scale_f64 v[12:13], vcc, v[6:7], v[36:37], v[6:7]
	v_mul_f64 v[14:15], v[12:13], v[10:11]
	v_fma_f64 v[8:9], -v[8:9], v[14:15], v[12:13]
	s_nop 1
	v_div_fmas_f64 v[8:9], v[8:9], v[10:11], v[14:15]
	v_div_fixup_f64 v[28:29], v[8:9], v[36:37], v[6:7]
	v_mul_f64 v[6:7], v[59:60], v[20:21]
	v_fma_f64 v[4:5], v[4:5], v[32:33], -v[6:7]
	v_div_scale_f64 v[6:7], s[30:31], v[36:37], v[36:37], v[4:5]
	v_rcp_f64_e32 v[8:9], v[6:7]
	v_fma_f64 v[10:11], -v[6:7], v[8:9], 1.0
	v_fma_f64 v[8:9], v[8:9], v[10:11], v[8:9]
	v_fma_f64 v[10:11], -v[6:7], v[8:9], 1.0
	v_fma_f64 v[8:9], v[8:9], v[10:11], v[8:9]
	v_div_scale_f64 v[10:11], vcc, v[4:5], v[36:37], v[4:5]
	v_mul_f64 v[12:13], v[10:11], v[8:9]
	v_fma_f64 v[6:7], -v[6:7], v[12:13], v[10:11]
	s_nop 1
	v_div_fmas_f64 v[6:7], v[6:7], v[8:9], v[12:13]
	v_div_fixup_f64 v[4:5], v[6:7], v[36:37], v[4:5]
	v_mul_f64 v[6:7], v[4:5], 0
	s_waitcnt lgkmcnt(0)
	v_mul_f64 v[4:5], s[10:11], v[4:5]
	v_fma_f64 v[6:7], s[10:11], v[28:29], -v[6:7]
	v_fma_f64 v[4:5], v[28:29], 0, v[4:5]
	v_add_f64 v[23:24], v[23:24], v[6:7]
	v_add_f64 v[18:19], v[18:19], v[4:5]
	s_cbranch_scc0 .LBB0_120
; %bb.121:                              ;   in Loop: Header=BB0_108 Depth=2
	buffer_load_dword v20, off, s[0:3], 0 offset:148 ; 4-byte Folded Reload
	v_mov_b32_e32 v60, s47
	v_mov_b32_e32 v59, s46
	;; [unrolled: 1-line block ×4, first 2 shown]
	s_mov_b32 s56, s94
	v_mul_f64 v[57:58], v[34:35], v[34:35]
	buffer_load_dword v61, off, s[0:3], 0 offset:156 ; 4-byte Folded Reload
	buffer_load_dword v62, off, s[0:3], 0 offset:160 ; 4-byte Folded Reload
	v_mov_b32_e32 v55, v53
	v_mov_b32_e32 v54, 0x40100000
	s_waitcnt vmcnt(2)
	v_and_b32_e32 v4, 1, v20
	v_cmp_eq_u32_e32 vcc, 0, v4
	v_mul_f64 v[4:5], v[38:39], v[38:39]
	v_mul_f64 v[6:7], v[4:5], 0.5
	v_fma_f64 v[12:13], v[4:5], s[48:49], v[59:60]
	v_mul_f64 v[10:11], v[4:5], v[4:5]
	v_add_f64 v[8:9], -v[6:7], 1.0
	v_fma_f64 v[12:13], v[4:5], v[12:13], s[50:51]
	v_add_f64 v[14:15], -v[8:9], 1.0
	v_fma_f64 v[12:13], v[4:5], v[12:13], s[52:53]
	v_add_f64 v[6:7], v[14:15], -v[6:7]
	v_fma_f64 v[12:13], v[4:5], v[12:13], s[54:55]
	v_mul_f64 v[14:15], v[51:52], 0
	v_fma_f64 v[6:7], v[38:39], -v[40:41], v[6:7]
	v_fma_f64 v[12:13], v[4:5], v[12:13], s[94:95]
	v_fma_f64 v[6:7], v[10:11], v[12:13], v[6:7]
	;; [unrolled: 1-line block ×3, first 2 shown]
	v_mul_f64 v[12:13], v[40:41], 0.5
	v_add_f64 v[6:7], v[8:9], v[6:7]
	v_fma_f64 v[10:11], v[4:5], v[10:11], s[62:63]
	v_mul_f64 v[8:9], v[38:39], -v[4:5]
	v_fma_f64 v[10:11], v[4:5], v[10:11], s[64:65]
	v_fma_f64 v[10:11], v[4:5], v[10:11], s[66:67]
	;; [unrolled: 1-line block ×3, first 2 shown]
	v_mov_b32_e32 v12, 0x7ff80000
	v_fma_f64 v[4:5], v[4:5], v[10:11], -v[40:41]
	v_fma_f64 v[10:11], v[57:58], s[48:49], v[59:60]
	v_fma_f64 v[4:5], v[8:9], s[56:57], v[4:5]
	;; [unrolled: 1-line block ×3, first 2 shown]
	v_add_f64 v[4:5], v[38:39], -v[4:5]
	v_fma_f64 v[10:11], v[57:58], v[10:11], s[52:53]
	v_xor_b32_e32 v5, 0x80000000, v5
	v_cndmask_b32_e32 v4, v4, v6, vcc
	v_lshlrev_b32_e32 v6, 30, v20
	v_cndmask_b32_e32 v5, v5, v7, vcc
	v_and_b32_e32 v6, 0x80000000, v6
	v_xor_b32_e32 v5, v5, v6
	v_cndmask_b32_e64 v38, 0, v4, s[4:5]
	v_cndmask_b32_e64 v39, v12, v5, s[4:5]
	v_mul_f64 v[4:5], v[57:58], 0.5
	v_fma_f64 v[10:11], v[57:58], v[10:11], s[54:55]
	v_add_f64 v[6:7], -v[4:5], 1.0
	v_fma_f64 v[10:11], v[57:58], v[10:11], s[94:95]
	v_add_f64 v[8:9], -v[6:7], 1.0
	v_add_f64 v[4:5], v[8:9], -v[4:5]
	v_mul_f64 v[8:9], v[57:58], v[57:58]
	v_fma_f64 v[4:5], v[34:35], -v[26:27], v[4:5]
	v_fma_f64 v[4:5], v[8:9], v[10:11], v[4:5]
	v_mul_f64 v[10:11], v[44:45], 0
	v_add_f64 v[40:41], v[6:7], v[4:5]
	v_fma_f64 v[4:5], v[57:58], s[60:61], v[16:17]
	v_mul_f64 v[16:17], v[34:35], -v[57:58]
	v_mul_f64 v[6:7], v[26:27], 0.5
	v_add_f64 v[10:11], v[10:11], v[42:43]
	v_mov_b32_e32 v42, 0xffffff80
	v_mov_b32_e32 v43, 0x260
	v_fma_f64 v[4:5], v[57:58], v[4:5], s[62:63]
	v_fma_f64 v[4:5], v[57:58], v[4:5], s[64:65]
	;; [unrolled: 1-line block ×4, first 2 shown]
	v_and_b32_e32 v6, 1, v46
	v_cmp_eq_u32_e32 vcc, 0, v6
	v_lshlrev_b32_e32 v6, 30, v46
	v_xor_b32_e32 v6, v6, v56
	v_and_b32_e32 v6, 0x80000000, v6
	v_mov_b32_e32 v56, 0
	v_fma_f64 v[4:5], v[57:58], v[4:5], -v[26:27]
	v_fma_f64 v[4:5], v[16:17], s[56:57], v[4:5]
	v_add_f64 v[4:5], v[34:35], -v[4:5]
	v_cndmask_b32_e32 v5, v41, v5, vcc
	v_cndmask_b32_e32 v4, v40, v4, vcc
	v_xor_b32_e32 v5, v5, v6
	v_cndmask_b32_e64 v4, 0, v4, s[4:5]
	v_cndmask_b32_e64 v5, v12, v5, s[4:5]
	v_mul_f64 v[6:7], v[30:31], v[38:39]
	v_mul_f64 v[8:9], v[30:31], v[4:5]
	buffer_load_dword v31, off, s[0:3], 0 offset:64 ; 4-byte Folded Reload
	buffer_load_dword v32, off, s[0:3], 0 offset:68 ; 4-byte Folded Reload
	;; [unrolled: 1-line block ×4, first 2 shown]
	v_mov_b32_e32 v41, 0x7ff80000
	v_mov_b32_e32 v40, 0x100
	v_fma_f64 v[4:5], v[4:5], 0, -v[6:7]
	v_fma_f64 v[8:9], v[38:39], 0, v[8:9]
	buffer_load_dword v33, off, s[0:3], 0 offset:152 ; 4-byte Folded Reload
	buffer_load_dword v36, off, s[0:3], 0 offset:132 ; 4-byte Folded Reload
	;; [unrolled: 1-line block ×5, first 2 shown]
	v_add_f64 v[4:5], v[4:5], 1.0
	v_add_f64 v[6:7], -v[8:9], 0
	v_fma_f64 v[8:9], v[6:7], 0, v[4:5]
	v_fma_f64 v[4:5], v[4:5], 0, -v[6:7]
	v_mul_f64 v[6:7], v[44:45], s[90:91]
	v_mul_f64 v[12:13], v[10:11], v[8:9]
	v_add_f64 v[6:7], v[6:7], -v[14:15]
	v_fma_f64 v[12:13], v[6:7], v[4:5], v[12:13]
	v_mul_f64 v[4:5], v[10:11], v[4:5]
	v_mul_f64 v[10:11], v[10:11], v[10:11]
	v_fma_f64 v[20:21], v[6:7], v[8:9], -v[4:5]
	v_fma_f64 v[4:5], v[6:7], v[6:7], v[10:11]
	v_div_scale_f64 v[6:7], s[4:5], v[4:5], v[4:5], v[12:13]
	v_rcp_f64_e32 v[8:9], v[6:7]
	v_fma_f64 v[10:11], -v[6:7], v[8:9], 1.0
	v_fma_f64 v[8:9], v[8:9], v[10:11], v[8:9]
	v_fma_f64 v[10:11], -v[6:7], v[8:9], 1.0
	v_fma_f64 v[8:9], v[8:9], v[10:11], v[8:9]
	v_div_scale_f64 v[10:11], vcc, v[12:13], v[4:5], v[12:13]
	v_mul_f64 v[14:15], v[10:11], v[8:9]
	v_fma_f64 v[6:7], -v[6:7], v[14:15], v[10:11]
	s_nop 1
	v_div_fmas_f64 v[6:7], v[6:7], v[8:9], v[14:15]
	v_div_fixup_f64 v[16:17], v[6:7], v[4:5], v[12:13]
	v_div_scale_f64 v[6:7], s[4:5], v[4:5], v[4:5], v[20:21]
	v_rcp_f64_e32 v[8:9], v[6:7]
	v_fma_f64 v[10:11], -v[6:7], v[8:9], 1.0
	v_fma_f64 v[8:9], v[8:9], v[10:11], v[8:9]
	v_fma_f64 v[10:11], -v[6:7], v[8:9], 1.0
	v_fma_f64 v[8:9], v[8:9], v[10:11], v[8:9]
	v_div_scale_f64 v[10:11], vcc, v[20:21], v[4:5], v[20:21]
	v_mul_f64 v[12:13], v[10:11], v[8:9]
	v_fma_f64 v[6:7], -v[6:7], v[12:13], v[10:11]
	s_nop 1
	v_div_fmas_f64 v[6:7], v[6:7], v[8:9], v[12:13]
	v_mul_f64 v[8:9], v[51:52], v[23:24]
	v_fma_f64 v[8:9], v[44:45], v[18:19], v[8:9]
	v_div_fixup_f64 v[4:5], v[6:7], v[4:5], v[20:21]
	v_mul_f64 v[6:7], v[51:52], v[18:19]
	v_mul_f64 v[10:11], v[8:9], s[76:77]
	;; [unrolled: 1-line block ×3, first 2 shown]
	v_fma_f64 v[6:7], v[44:45], v[23:24], -v[6:7]
	v_fma_f64 v[10:11], v[6:7], 0, -v[10:11]
	v_fma_f64 v[6:7], v[6:7], s[76:77], v[8:9]
	v_add_f64 v[23:24], v[16:17], v[10:11]
	v_add_f64 v[16:17], v[4:5], v[6:7]
	s_branch .LBB0_107
.LBB0_122:
	s_or_b64 exec, exec, s[78:79]
	buffer_load_dword v10, off, s[0:3], 0 offset:232 ; 4-byte Folded Reload
	buffer_load_dword v11, off, s[0:3], 0 offset:236 ; 4-byte Folded Reload
	v_readlane_b32 s46, v63, 6
	v_readlane_b32 s47, v63, 7
.LBB0_123:
	v_readlane_b32 s4, v63, 4
	v_readlane_b32 s5, v63, 5
	s_or_b64 exec, exec, s[4:5]
	v_max_f64 v[0:1], v[59:60], v[59:60]
	s_mov_b32 s4, -1
	s_mov_b32 s5, 0xffefffff
	s_waitcnt vmcnt(0)
	v_ashrrev_i32_e32 v11, 31, v10
	v_lshlrev_b64 v[3:4], 3, v[10:11]
	v_mov_b32_e32 v5, s47
	v_mov_b32_e32 v2, 0
	v_max_f64 v[0:1], v[0:1], s[4:5]
	v_cmp_gt_f64_e32 vcc, v[57:58], v[0:1]
	v_cndmask_b32_e32 v1, v1, v58, vcc
	v_cndmask_b32_e32 v0, v0, v57, vcc
	v_cmp_gt_f64_e64 s[4:5], v[52:53], v[0:1]
	v_cndmask_b32_e64 v6, 1, 2, vcc
	v_cndmask_b32_e64 v1, v1, v53, s[4:5]
	v_cndmask_b32_e64 v0, v0, v52, s[4:5]
	v_cmp_ngt_f64_e32 vcc, v[8:9], v[0:1]
	v_cndmask_b32_e64 v6, v6, 3, s[4:5]
	v_cndmask_b32_e32 v1, 4, v6, vcc
	v_add_co_u32_e32 v3, vcc, s46, v3
	v_addc_co_u32_e32 v4, vcc, v5, v4, vcc
	global_store_dwordx2 v[3:4], v[1:2], off
.LBB0_124:
	s_endpgm
	.section	.rodata,"a",@progbits
	.p2align	6, 0x0
	.amdhsa_kernel _Z25xs_lookup_kernel_baseline5Input14SimulationData
		.amdhsa_group_segment_fixed_size 0
		.amdhsa_private_segment_fixed_size 256
		.amdhsa_kernarg_size 496
		.amdhsa_user_sgpr_count 6
		.amdhsa_user_sgpr_private_segment_buffer 1
		.amdhsa_user_sgpr_dispatch_ptr 0
		.amdhsa_user_sgpr_queue_ptr 0
		.amdhsa_user_sgpr_kernarg_segment_ptr 1
		.amdhsa_user_sgpr_dispatch_id 0
		.amdhsa_user_sgpr_flat_scratch_init 0
		.amdhsa_user_sgpr_private_segment_size 0
		.amdhsa_uses_dynamic_stack 0
		.amdhsa_system_sgpr_private_segment_wavefront_offset 1
		.amdhsa_system_sgpr_workgroup_id_x 1
		.amdhsa_system_sgpr_workgroup_id_y 0
		.amdhsa_system_sgpr_workgroup_id_z 0
		.amdhsa_system_sgpr_workgroup_info 0
		.amdhsa_system_vgpr_workitem_id 0
		.amdhsa_next_free_vgpr 64
		.amdhsa_next_free_sgpr 100
		.amdhsa_reserve_vcc 1
		.amdhsa_reserve_flat_scratch 0
		.amdhsa_float_round_mode_32 0
		.amdhsa_float_round_mode_16_64 0
		.amdhsa_float_denorm_mode_32 3
		.amdhsa_float_denorm_mode_16_64 3
		.amdhsa_dx10_clamp 1
		.amdhsa_ieee_mode 1
		.amdhsa_fp16_overflow 0
		.amdhsa_exception_fp_ieee_invalid_op 0
		.amdhsa_exception_fp_denorm_src 0
		.amdhsa_exception_fp_ieee_div_zero 0
		.amdhsa_exception_fp_ieee_overflow 0
		.amdhsa_exception_fp_ieee_underflow 0
		.amdhsa_exception_fp_ieee_inexact 0
		.amdhsa_exception_int_div_zero 0
	.end_amdhsa_kernel
	.text
.Lfunc_end0:
	.size	_Z25xs_lookup_kernel_baseline5Input14SimulationData, .Lfunc_end0-_Z25xs_lookup_kernel_baseline5Input14SimulationData
                                        ; -- End function
	.set _Z25xs_lookup_kernel_baseline5Input14SimulationData.num_vgpr, 64
	.set _Z25xs_lookup_kernel_baseline5Input14SimulationData.num_agpr, 0
	.set _Z25xs_lookup_kernel_baseline5Input14SimulationData.numbered_sgpr, 100
	.set _Z25xs_lookup_kernel_baseline5Input14SimulationData.num_named_barrier, 0
	.set _Z25xs_lookup_kernel_baseline5Input14SimulationData.private_seg_size, 256
	.set _Z25xs_lookup_kernel_baseline5Input14SimulationData.uses_vcc, 1
	.set _Z25xs_lookup_kernel_baseline5Input14SimulationData.uses_flat_scratch, 0
	.set _Z25xs_lookup_kernel_baseline5Input14SimulationData.has_dyn_sized_stack, 0
	.set _Z25xs_lookup_kernel_baseline5Input14SimulationData.has_recursion, 0
	.set _Z25xs_lookup_kernel_baseline5Input14SimulationData.has_indirect_call, 0
	.section	.AMDGPU.csdata,"",@progbits
; Kernel info:
; codeLenInByte = 31412
; TotalNumSgprs: 104
; NumVgprs: 64
; ScratchSize: 256
; MemoryBound: 1
; FloatMode: 240
; IeeeMode: 1
; LDSByteSize: 0 bytes/workgroup (compile time only)
; SGPRBlocks: 12
; VGPRBlocks: 15
; NumSGPRsForWavesPerEU: 104
; NumVGPRsForWavesPerEU: 64
; Occupancy: 4
; WaveLimiterHint : 1
; COMPUTE_PGM_RSRC2:SCRATCH_EN: 1
; COMPUTE_PGM_RSRC2:USER_SGPR: 6
; COMPUTE_PGM_RSRC2:TRAP_HANDLER: 0
; COMPUTE_PGM_RSRC2:TGID_X_EN: 1
; COMPUTE_PGM_RSRC2:TGID_Y_EN: 0
; COMPUTE_PGM_RSRC2:TGID_Z_EN: 0
; COMPUTE_PGM_RSRC2:TIDIG_COMP_CNT: 0
	.section	.AMDGPU.gpr_maximums,"",@progbits
	.set amdgpu.max_num_vgpr, 0
	.set amdgpu.max_num_agpr, 0
	.set amdgpu.max_num_sgpr, 0
	.section	.AMDGPU.csdata,"",@progbits
	.type	__const._Z14fast_nuclear_W9RSComplex.an,@object ; @__const._Z14fast_nuclear_W9RSComplex.an
	.section	.rodata,"a",@progbits
	.p2align	4, 0x0
__const._Z14fast_nuclear_W9RSComplex.an:
	.quad	0x3fd1a75da77b03ac              ; double 0.27584019999999998
	.quad	0x3fccbed740c4156e              ; double 0.224574
	.quad	0x3fc467b51aff5fc7              ; double 0.1594149
	.quad	0x3fb94228ef6278f1              ; double 0.09866577
	.quad	0x3fab42d0e001ddd1              ; double 0.053244140000000002
	.quad	0x3f99a74553c72771              ; double 0.025052149999999999
	.quad	0x3f850c5aac48f3ba              ; double 0.01027747
	.quad	0x3f6e1d7984f391aa              ; double 0.003676164
	.quad	0x3f52c8be8f0b3a0a              ; double 0.0011464940000000001
	.quad	0x3f346e6a1e8a624d              ; double 3.1175700000000002E-4
	.size	__const._Z14fast_nuclear_W9RSComplex.an, 80

	.type	__const._Z14fast_nuclear_W9RSComplex.neg_1n,@object ; @__const._Z14fast_nuclear_W9RSComplex.neg_1n
	.p2align	4, 0x0
__const._Z14fast_nuclear_W9RSComplex.neg_1n:
	.quad	0xbff0000000000000              ; double -1
	.quad	0x3ff0000000000000              ; double 1
	.quad	0xbff0000000000000              ; double -1
	.quad	0x3ff0000000000000              ; double 1
	;; [unrolled: 2-line block ×5, first 2 shown]
	.size	__const._Z14fast_nuclear_W9RSComplex.neg_1n, 80

	.type	__const._Z14fast_nuclear_W9RSComplex.denominator_left,@object ; @__const._Z14fast_nuclear_W9RSComplex.denominator_left
	.p2align	4, 0x0
__const._Z14fast_nuclear_W9RSComplex.denominator_left:
	.quad	0x4023bd3cbc48f10b              ; double 9.8696040000000007
	.quad	0x4043bd3cddd6e04c              ; double 39.47842
	;; [unrolled: 1-line block ×10, first 2 shown]
	.size	__const._Z14fast_nuclear_W9RSComplex.denominator_left, 80

	.type	__hip_cuid_c9bd79363b4977e6,@object ; @__hip_cuid_c9bd79363b4977e6
	.section	.bss,"aw",@nobits
	.globl	__hip_cuid_c9bd79363b4977e6
__hip_cuid_c9bd79363b4977e6:
	.byte	0                               ; 0x0
	.size	__hip_cuid_c9bd79363b4977e6, 1

	.ident	"AMD clang version 22.0.0git (https://github.com/RadeonOpenCompute/llvm-project roc-7.2.4 26084 f58b06dce1f9c15707c5f808fd002e18c2accf7e)"
	.section	".note.GNU-stack","",@progbits
	.addrsig
	.addrsig_sym __hip_cuid_c9bd79363b4977e6
	.amdgpu_metadata
---
amdhsa.kernels:
  - .args:
      - .offset:         0
        .size:           44
        .value_kind:     by_value
      - .offset:         48
        .size:           192
        .value_kind:     by_value
      - .offset:         240
        .size:           4
        .value_kind:     hidden_block_count_x
      - .offset:         244
        .size:           4
        .value_kind:     hidden_block_count_y
      - .offset:         248
        .size:           4
        .value_kind:     hidden_block_count_z
      - .offset:         252
        .size:           2
        .value_kind:     hidden_group_size_x
      - .offset:         254
        .size:           2
        .value_kind:     hidden_group_size_y
      - .offset:         256
        .size:           2
        .value_kind:     hidden_group_size_z
      - .offset:         258
        .size:           2
        .value_kind:     hidden_remainder_x
      - .offset:         260
        .size:           2
        .value_kind:     hidden_remainder_y
      - .offset:         262
        .size:           2
        .value_kind:     hidden_remainder_z
      - .offset:         280
        .size:           8
        .value_kind:     hidden_global_offset_x
      - .offset:         288
        .size:           8
        .value_kind:     hidden_global_offset_y
      - .offset:         296
        .size:           8
        .value_kind:     hidden_global_offset_z
      - .offset:         304
        .size:           2
        .value_kind:     hidden_grid_dims
    .group_segment_fixed_size: 0
    .kernarg_segment_align: 8
    .kernarg_segment_size: 496
    .language:       OpenCL C
    .language_version:
      - 2
      - 0
    .max_flat_workgroup_size: 1024
    .name:           _Z25xs_lookup_kernel_baseline5Input14SimulationData
    .private_segment_fixed_size: 256
    .sgpr_count:     104
    .sgpr_spill_count: 10
    .symbol:         _Z25xs_lookup_kernel_baseline5Input14SimulationData.kd
    .uniform_work_group_size: 1
    .uses_dynamic_stack: false
    .vgpr_count:     64
    .vgpr_spill_count: 45
    .wavefront_size: 64
amdhsa.target:   amdgcn-amd-amdhsa--gfx906
amdhsa.version:
  - 1
  - 2
...

	.end_amdgpu_metadata
